;; amdgpu-corpus repo=ggml-org/llama.cpp kind=compiled arch=gfx1100 opt=O3
	.text
	.amdgcn_target "amdgcn-amd-amdhsa--gfx1100"
	.amdhsa_code_object_version 6
	.section	.text._ZL10k_set_rowsIflfEvPKT_PKT0_PT1_llllllllllllll15HIP_vector_typeIjLj3EES9_S9_S9_S9_,"axG",@progbits,_ZL10k_set_rowsIflfEvPKT_PKT0_PT1_llllllllllllll15HIP_vector_typeIjLj3EES9_S9_S9_S9_,comdat
	.globl	_ZL10k_set_rowsIflfEvPKT_PKT0_PT1_llllllllllllll15HIP_vector_typeIjLj3EES9_S9_S9_S9_ ; -- Begin function _ZL10k_set_rowsIflfEvPKT_PKT0_PT1_llllllllllllll15HIP_vector_typeIjLj3EES9_S9_S9_S9_
	.p2align	8
	.type	_ZL10k_set_rowsIflfEvPKT_PKT0_PT1_llllllllllllll15HIP_vector_typeIjLj3EES9_S9_S9_S9_,@function
_ZL10k_set_rowsIflfEvPKT_PKT0_PT1_llllllllllllll15HIP_vector_typeIjLj3EES9_S9_S9_S9_: ; @_ZL10k_set_rowsIflfEvPKT_PKT0_PT1_llllllllllllll15HIP_vector_typeIjLj3EES9_S9_S9_S9_
; %bb.0:
	s_clause 0x1
	s_load_b32 s2, s[0:1], 0xd4
	s_load_b256 s[20:27], s[0:1], 0x0
	v_mov_b32_e32 v1, 0
	s_waitcnt lgkmcnt(0)
	s_and_b32 s2, s2, 0xffff
	s_delay_alu instid0(VALU_DEP_1) | instid1(SALU_CYCLE_1)
	v_mad_u64_u32 v[2:3], null, s2, s15, v[0:1]
	s_mov_b32 s2, exec_lo
	s_delay_alu instid0(VALU_DEP_1)
	v_cmpx_gt_i64_e64 s[26:27], v[2:3]
	s_cbranch_execz .LBB0_2
; %bb.1:
	s_clause 0x5
	s_load_b256 s[36:43], s[0:1], 0x88
	s_load_b128 s[28:31], s[0:1], 0xa8
	s_load_b64 s[2:3], s[0:1], 0xb8
	s_load_b32 s26, s[0:1], 0xc0
	s_load_b512 s[4:19], s[0:1], 0x40
	s_load_b64 s[0:1], s[0:1], 0x80
	s_waitcnt lgkmcnt(0)
	v_mul_hi_u32 v0, v2, s36
	s_delay_alu instid0(VALU_DEP_1) | instskip(NEXT) | instid1(VALU_DEP_1)
	v_add_nc_u32_e32 v0, v0, v2
	v_lshrrev_b32_e32 v13, s37, v0
	s_delay_alu instid0(VALU_DEP_1) | instskip(NEXT) | instid1(VALU_DEP_1)
	v_mul_hi_u32 v0, v13, s39
	v_add_nc_u32_e32 v0, v13, v0
	s_delay_alu instid0(VALU_DEP_1) | instskip(NEXT) | instid1(VALU_DEP_1)
	v_lshrrev_b32_e32 v0, s40, v0
	v_mul_hi_u32 v3, v0, s42
	s_delay_alu instid0(VALU_DEP_1) | instskip(NEXT) | instid1(VALU_DEP_1)
	v_add_nc_u32_e32 v3, v0, v3
	v_lshrrev_b32_e32 v14, s43, v3
	s_delay_alu instid0(VALU_DEP_1) | instskip(SKIP_1) | instid1(VALU_DEP_2)
	v_mul_lo_u32 v3, v14, s28
	v_mul_hi_u32 v4, v14, s2
	v_sub_nc_u32_e32 v15, v0, v3
	v_mul_lo_u32 v0, v0, s41
	s_delay_alu instid0(VALU_DEP_3) | instskip(NEXT) | instid1(VALU_DEP_3)
	v_add_nc_u32_e32 v4, v14, v4
	v_mul_hi_u32 v3, v15, s29
	s_delay_alu instid0(VALU_DEP_2) | instskip(NEXT) | instid1(VALU_DEP_4)
	v_lshrrev_b32_e32 v4, s3, v4
	v_sub_nc_u32_e32 v12, v13, v0
	s_delay_alu instid0(VALU_DEP_2) | instskip(NEXT) | instid1(VALU_DEP_4)
	v_mul_lo_u32 v0, v4, s26
	v_add_nc_u32_e32 v3, v15, v3
	s_delay_alu instid0(VALU_DEP_1) | instskip(NEXT) | instid1(VALU_DEP_3)
	v_lshrrev_b32_e32 v3, s30, v3
	v_sub_nc_u32_e32 v17, v14, v0
	s_delay_alu instid0(VALU_DEP_2) | instskip(SKIP_1) | instid1(VALU_DEP_3)
	v_mul_lo_u32 v5, v3, s31
	v_mad_u64_u32 v[3:4], null, v12, s10, 0
	v_mad_u64_u32 v[7:8], null, v17, s14, 0
	s_delay_alu instid0(VALU_DEP_3) | instskip(NEXT) | instid1(VALU_DEP_3)
	v_sub_nc_u32_e32 v16, v15, v5
	v_mov_b32_e32 v0, v4
	s_delay_alu instid0(VALU_DEP_2) | instskip(NEXT) | instid1(VALU_DEP_2)
	v_mad_u64_u32 v[5:6], null, v16, s12, 0
	v_mad_u64_u32 v[9:10], null, v12, s11, v[0:1]
	s_delay_alu instid0(VALU_DEP_2) | instskip(SKIP_1) | instid1(VALU_DEP_3)
	v_mov_b32_e32 v0, v6
	v_mov_b32_e32 v6, v8
	;; [unrolled: 1-line block ×3, first 2 shown]
	s_delay_alu instid0(VALU_DEP_3) | instskip(NEXT) | instid1(VALU_DEP_3)
	v_mad_u64_u32 v[10:11], null, v16, s13, v[0:1]
	v_mad_u64_u32 v[8:9], null, v17, s15, v[6:7]
	s_delay_alu instid0(VALU_DEP_3) | instskip(NEXT) | instid1(VALU_DEP_3)
	v_lshlrev_b64 v[3:4], 3, v[3:4]
	v_mov_b32_e32 v6, v10
	v_mad_u64_u32 v[9:10], null, v12, s4, 0
	s_delay_alu instid0(VALU_DEP_3) | instskip(NEXT) | instid1(VALU_DEP_3)
	v_add_co_u32 v0, vcc_lo, s22, v3
	v_lshlrev_b64 v[5:6], 3, v[5:6]
	v_add_co_ci_u32_e32 v11, vcc_lo, s23, v4, vcc_lo
	v_lshlrev_b64 v[3:4], 3, v[7:8]
	v_mad_u64_u32 v[7:8], null, v14, s8, 0
	s_delay_alu instid0(VALU_DEP_4) | instskip(NEXT) | instid1(VALU_DEP_4)
	v_add_co_u32 v0, vcc_lo, v0, v5
	v_add_co_ci_u32_e32 v5, vcc_lo, v11, v6, vcc_lo
	s_delay_alu instid0(VALU_DEP_2) | instskip(NEXT) | instid1(VALU_DEP_2)
	v_add_co_u32 v3, vcc_lo, v0, v3
	v_add_co_ci_u32_e32 v4, vcc_lo, v5, v4, vcc_lo
	v_mad_u64_u32 v[5:6], null, v15, s6, 0
	v_mov_b32_e32 v0, v10
	global_load_b64 v[3:4], v[3:4], off
	v_mad_u64_u32 v[10:11], null, v12, s5, v[0:1]
	v_mov_b32_e32 v0, v6
	v_mov_b32_e32 v6, v8
	s_delay_alu instid0(VALU_DEP_2) | instskip(SKIP_1) | instid1(VALU_DEP_3)
	v_mad_u64_u32 v[11:12], null, v15, s7, v[0:1]
	v_mul_lo_u32 v0, v13, s38
	v_mad_u64_u32 v[12:13], null, v14, s9, v[6:7]
	v_lshlrev_b64 v[9:10], 2, v[9:10]
	s_delay_alu instid0(VALU_DEP_4) | instskip(NEXT) | instid1(VALU_DEP_4)
	v_mov_b32_e32 v6, v11
	v_sub_nc_u32_e32 v0, v2, v0
	s_delay_alu instid0(VALU_DEP_4) | instskip(NEXT) | instid1(VALU_DEP_4)
	v_mov_b32_e32 v8, v12
	v_add_co_u32 v2, vcc_lo, s20, v9
	s_delay_alu instid0(VALU_DEP_4) | instskip(SKIP_1) | instid1(VALU_DEP_4)
	v_lshlrev_b64 v[5:6], 2, v[5:6]
	v_add_co_ci_u32_e32 v9, vcc_lo, s21, v10, vcc_lo
	v_lshlrev_b64 v[7:8], 2, v[7:8]
	v_lshlrev_b64 v[0:1], 2, v[0:1]
	s_delay_alu instid0(VALU_DEP_4) | instskip(NEXT) | instid1(VALU_DEP_4)
	v_add_co_u32 v2, vcc_lo, v2, v5
	v_add_co_ci_u32_e32 v5, vcc_lo, v9, v6, vcc_lo
	s_delay_alu instid0(VALU_DEP_2) | instskip(NEXT) | instid1(VALU_DEP_2)
	v_add_co_u32 v2, vcc_lo, v2, v7
	v_add_co_ci_u32_e32 v6, vcc_lo, v5, v8, vcc_lo
	v_mad_u64_u32 v[7:8], null, v14, s0, 0
	s_delay_alu instid0(VALU_DEP_3) | instskip(NEXT) | instid1(VALU_DEP_3)
	v_add_co_u32 v5, vcc_lo, v2, v0
	v_add_co_ci_u32_e32 v6, vcc_lo, v6, v1, vcc_lo
	global_load_b32 v16, v[5:6], off
	v_mad_u64_u32 v[5:6], null, v15, s18, 0
	s_delay_alu instid0(VALU_DEP_1)
	v_mov_b32_e32 v2, v6
	s_waitcnt vmcnt(1)
	v_mul_lo_u32 v4, v4, s16
	v_mul_lo_u32 v13, v3, s17
	v_mad_u64_u32 v[9:10], null, v3, s16, 0
	v_mov_b32_e32 v3, v8
	s_delay_alu instid0(VALU_DEP_1) | instskip(NEXT) | instid1(VALU_DEP_3)
	v_mad_u64_u32 v[11:12], null, v15, s19, v[2:3]
	v_add3_u32 v10, v10, v13, v4
	v_mad_u64_u32 v[12:13], null, v14, s1, v[3:4]
	s_delay_alu instid0(VALU_DEP_2) | instskip(NEXT) | instid1(VALU_DEP_4)
	v_lshlrev_b64 v[2:3], 2, v[9:10]
	v_mov_b32_e32 v6, v11
	s_delay_alu instid0(VALU_DEP_3) | instskip(NEXT) | instid1(VALU_DEP_2)
	v_mov_b32_e32 v8, v12
	v_lshlrev_b64 v[4:5], 2, v[5:6]
	s_delay_alu instid0(VALU_DEP_4) | instskip(SKIP_1) | instid1(VALU_DEP_4)
	v_add_co_u32 v6, vcc_lo, s24, v2
	v_add_co_ci_u32_e32 v9, vcc_lo, s25, v3, vcc_lo
	v_lshlrev_b64 v[2:3], 2, v[7:8]
	s_delay_alu instid0(VALU_DEP_3) | instskip(NEXT) | instid1(VALU_DEP_3)
	v_add_co_u32 v4, vcc_lo, v6, v4
	v_add_co_ci_u32_e32 v5, vcc_lo, v9, v5, vcc_lo
	s_delay_alu instid0(VALU_DEP_2) | instskip(NEXT) | instid1(VALU_DEP_2)
	v_add_co_u32 v2, vcc_lo, v4, v2
	v_add_co_ci_u32_e32 v3, vcc_lo, v5, v3, vcc_lo
	s_delay_alu instid0(VALU_DEP_2) | instskip(NEXT) | instid1(VALU_DEP_2)
	v_add_co_u32 v0, vcc_lo, v2, v0
	v_add_co_ci_u32_e32 v1, vcc_lo, v3, v1, vcc_lo
	s_waitcnt vmcnt(0)
	global_store_b32 v[0:1], v16, off
.LBB0_2:
	s_nop 0
	s_sendmsg sendmsg(MSG_DEALLOC_VGPRS)
	s_endpgm
	.section	.rodata,"a",@progbits
	.p2align	6, 0x0
	.amdhsa_kernel _ZL10k_set_rowsIflfEvPKT_PKT0_PT1_llllllllllllll15HIP_vector_typeIjLj3EES9_S9_S9_S9_
		.amdhsa_group_segment_fixed_size 0
		.amdhsa_private_segment_fixed_size 0
		.amdhsa_kernarg_size 456
		.amdhsa_user_sgpr_count 15
		.amdhsa_user_sgpr_dispatch_ptr 0
		.amdhsa_user_sgpr_queue_ptr 0
		.amdhsa_user_sgpr_kernarg_segment_ptr 1
		.amdhsa_user_sgpr_dispatch_id 0
		.amdhsa_user_sgpr_private_segment_size 0
		.amdhsa_wavefront_size32 1
		.amdhsa_uses_dynamic_stack 0
		.amdhsa_enable_private_segment 0
		.amdhsa_system_sgpr_workgroup_id_x 1
		.amdhsa_system_sgpr_workgroup_id_y 0
		.amdhsa_system_sgpr_workgroup_id_z 0
		.amdhsa_system_sgpr_workgroup_info 0
		.amdhsa_system_vgpr_workitem_id 0
		.amdhsa_next_free_vgpr 18
		.amdhsa_next_free_sgpr 44
		.amdhsa_reserve_vcc 1
		.amdhsa_float_round_mode_32 0
		.amdhsa_float_round_mode_16_64 0
		.amdhsa_float_denorm_mode_32 3
		.amdhsa_float_denorm_mode_16_64 3
		.amdhsa_dx10_clamp 1
		.amdhsa_ieee_mode 1
		.amdhsa_fp16_overflow 0
		.amdhsa_workgroup_processor_mode 1
		.amdhsa_memory_ordered 1
		.amdhsa_forward_progress 0
		.amdhsa_shared_vgpr_count 0
		.amdhsa_exception_fp_ieee_invalid_op 0
		.amdhsa_exception_fp_denorm_src 0
		.amdhsa_exception_fp_ieee_div_zero 0
		.amdhsa_exception_fp_ieee_overflow 0
		.amdhsa_exception_fp_ieee_underflow 0
		.amdhsa_exception_fp_ieee_inexact 0
		.amdhsa_exception_int_div_zero 0
	.end_amdhsa_kernel
	.section	.text._ZL10k_set_rowsIflfEvPKT_PKT0_PT1_llllllllllllll15HIP_vector_typeIjLj3EES9_S9_S9_S9_,"axG",@progbits,_ZL10k_set_rowsIflfEvPKT_PKT0_PT1_llllllllllllll15HIP_vector_typeIjLj3EES9_S9_S9_S9_,comdat
.Lfunc_end0:
	.size	_ZL10k_set_rowsIflfEvPKT_PKT0_PT1_llllllllllllll15HIP_vector_typeIjLj3EES9_S9_S9_S9_, .Lfunc_end0-_ZL10k_set_rowsIflfEvPKT_PKT0_PT1_llllllllllllll15HIP_vector_typeIjLj3EES9_S9_S9_S9_
                                        ; -- End function
	.section	.AMDGPU.csdata,"",@progbits
; Kernel info:
; codeLenInByte = 868
; NumSgprs: 46
; NumVgprs: 18
; ScratchSize: 0
; MemoryBound: 0
; FloatMode: 240
; IeeeMode: 1
; LDSByteSize: 0 bytes/workgroup (compile time only)
; SGPRBlocks: 5
; VGPRBlocks: 2
; NumSGPRsForWavesPerEU: 46
; NumVGPRsForWavesPerEU: 18
; Occupancy: 16
; WaveLimiterHint : 1
; COMPUTE_PGM_RSRC2:SCRATCH_EN: 0
; COMPUTE_PGM_RSRC2:USER_SGPR: 15
; COMPUTE_PGM_RSRC2:TRAP_HANDLER: 0
; COMPUTE_PGM_RSRC2:TGID_X_EN: 1
; COMPUTE_PGM_RSRC2:TGID_Y_EN: 0
; COMPUTE_PGM_RSRC2:TGID_Z_EN: 0
; COMPUTE_PGM_RSRC2:TIDIG_COMP_CNT: 0
	.section	.text._ZL10k_set_rowsIfl6__halfEvPKT_PKT0_PT1_llllllllllllll15HIP_vector_typeIjLj3EESA_SA_SA_SA_,"axG",@progbits,_ZL10k_set_rowsIfl6__halfEvPKT_PKT0_PT1_llllllllllllll15HIP_vector_typeIjLj3EESA_SA_SA_SA_,comdat
	.globl	_ZL10k_set_rowsIfl6__halfEvPKT_PKT0_PT1_llllllllllllll15HIP_vector_typeIjLj3EESA_SA_SA_SA_ ; -- Begin function _ZL10k_set_rowsIfl6__halfEvPKT_PKT0_PT1_llllllllllllll15HIP_vector_typeIjLj3EESA_SA_SA_SA_
	.p2align	8
	.type	_ZL10k_set_rowsIfl6__halfEvPKT_PKT0_PT1_llllllllllllll15HIP_vector_typeIjLj3EESA_SA_SA_SA_,@function
_ZL10k_set_rowsIfl6__halfEvPKT_PKT0_PT1_llllllllllllll15HIP_vector_typeIjLj3EESA_SA_SA_SA_: ; @_ZL10k_set_rowsIfl6__halfEvPKT_PKT0_PT1_llllllllllllll15HIP_vector_typeIjLj3EESA_SA_SA_SA_
; %bb.0:
	s_clause 0x1
	s_load_b32 s2, s[0:1], 0xd4
	s_load_b256 s[20:27], s[0:1], 0x0
	v_mov_b32_e32 v1, 0
	s_waitcnt lgkmcnt(0)
	s_and_b32 s2, s2, 0xffff
	s_delay_alu instid0(VALU_DEP_1) | instid1(SALU_CYCLE_1)
	v_mad_u64_u32 v[2:3], null, s2, s15, v[0:1]
	s_mov_b32 s2, exec_lo
	s_delay_alu instid0(VALU_DEP_1)
	v_cmpx_gt_i64_e64 s[26:27], v[2:3]
	s_cbranch_execz .LBB1_2
; %bb.1:
	s_clause 0x5
	s_load_b256 s[36:43], s[0:1], 0x88
	s_load_b128 s[28:31], s[0:1], 0xa8
	s_load_b64 s[2:3], s[0:1], 0xb8
	s_load_b32 s26, s[0:1], 0xc0
	s_load_b512 s[4:19], s[0:1], 0x40
	s_load_b64 s[0:1], s[0:1], 0x80
	s_waitcnt lgkmcnt(0)
	v_mul_hi_u32 v0, v2, s36
	s_delay_alu instid0(VALU_DEP_1) | instskip(NEXT) | instid1(VALU_DEP_1)
	v_add_nc_u32_e32 v0, v0, v2
	v_lshrrev_b32_e32 v17, s37, v0
	s_delay_alu instid0(VALU_DEP_1) | instskip(NEXT) | instid1(VALU_DEP_1)
	v_mul_hi_u32 v0, v17, s39
	v_add_nc_u32_e32 v0, v17, v0
	s_delay_alu instid0(VALU_DEP_1) | instskip(NEXT) | instid1(VALU_DEP_1)
	v_lshrrev_b32_e32 v0, s40, v0
	v_mul_hi_u32 v3, v0, s42
	s_delay_alu instid0(VALU_DEP_1) | instskip(NEXT) | instid1(VALU_DEP_1)
	v_add_nc_u32_e32 v3, v0, v3
	v_lshrrev_b32_e32 v18, s43, v3
	s_delay_alu instid0(VALU_DEP_1) | instskip(SKIP_1) | instid1(VALU_DEP_2)
	v_mul_lo_u32 v3, v18, s28
	v_mul_hi_u32 v4, v18, s2
	v_sub_nc_u32_e32 v19, v0, v3
	v_mul_lo_u32 v0, v0, s41
	s_delay_alu instid0(VALU_DEP_3) | instskip(NEXT) | instid1(VALU_DEP_3)
	v_add_nc_u32_e32 v4, v18, v4
	v_mul_hi_u32 v3, v19, s29
	s_delay_alu instid0(VALU_DEP_2) | instskip(NEXT) | instid1(VALU_DEP_4)
	v_lshrrev_b32_e32 v4, s3, v4
	v_sub_nc_u32_e32 v20, v17, v0
	s_delay_alu instid0(VALU_DEP_2) | instskip(NEXT) | instid1(VALU_DEP_4)
	v_mul_lo_u32 v0, v4, s26
	v_add_nc_u32_e32 v3, v19, v3
	s_delay_alu instid0(VALU_DEP_1) | instskip(NEXT) | instid1(VALU_DEP_3)
	v_lshrrev_b32_e32 v3, s30, v3
	v_sub_nc_u32_e32 v15, v18, v0
	s_delay_alu instid0(VALU_DEP_2) | instskip(SKIP_1) | instid1(VALU_DEP_3)
	v_mul_lo_u32 v5, v3, s31
	v_mad_u64_u32 v[3:4], null, v20, s10, 0
	v_mad_u64_u32 v[7:8], null, v15, s14, 0
	s_delay_alu instid0(VALU_DEP_3) | instskip(NEXT) | instid1(VALU_DEP_3)
	v_sub_nc_u32_e32 v14, v19, v5
	v_mov_b32_e32 v0, v4
	s_delay_alu instid0(VALU_DEP_2) | instskip(NEXT) | instid1(VALU_DEP_2)
	v_mad_u64_u32 v[5:6], null, v14, s12, 0
	v_mad_u64_u32 v[9:10], null, v20, s11, v[0:1]
	;; [unrolled: 1-line block ×3, first 2 shown]
	s_delay_alu instid0(VALU_DEP_3) | instskip(SKIP_1) | instid1(VALU_DEP_4)
	v_mov_b32_e32 v0, v6
	v_mov_b32_e32 v6, v8
	;; [unrolled: 1-line block ×3, first 2 shown]
	s_delay_alu instid0(VALU_DEP_3) | instskip(NEXT) | instid1(VALU_DEP_3)
	v_mad_u64_u32 v[12:13], null, v14, s13, v[0:1]
	v_mad_u64_u32 v[8:9], null, v15, s15, v[6:7]
	s_delay_alu instid0(VALU_DEP_3)
	v_lshlrev_b64 v[3:4], 3, v[3:4]
	v_mov_b32_e32 v0, v11
	v_mad_u64_u32 v[15:16], null, v19, s6, 0
	v_mov_b32_e32 v6, v12
	v_mad_u64_u32 v[13:14], null, v18, s8, 0
	v_add_co_u32 v9, vcc_lo, s22, v3
	s_delay_alu instid0(VALU_DEP_3) | instskip(SKIP_3) | instid1(VALU_DEP_4)
	v_lshlrev_b64 v[5:6], 3, v[5:6]
	v_add_co_ci_u32_e32 v11, vcc_lo, s23, v4, vcc_lo
	v_lshlrev_b64 v[3:4], 3, v[7:8]
	v_mul_lo_u32 v12, v17, s38
	v_add_co_u32 v7, vcc_lo, v9, v5
	s_delay_alu instid0(VALU_DEP_4) | instskip(SKIP_1) | instid1(VALU_DEP_3)
	v_add_co_ci_u32_e32 v6, vcc_lo, v11, v6, vcc_lo
	v_mov_b32_e32 v5, v16
	v_add_co_u32 v3, vcc_lo, v7, v3
	s_delay_alu instid0(VALU_DEP_3)
	v_add_co_ci_u32_e32 v4, vcc_lo, v6, v4, vcc_lo
	v_mad_u64_u32 v[6:7], null, v20, s5, v[0:1]
	v_mov_b32_e32 v0, v14
	global_load_b64 v[3:4], v[3:4], off
	v_mad_u64_u32 v[7:8], null, v19, s7, v[5:6]
	v_mov_b32_e32 v11, v6
	v_mad_u64_u32 v[8:9], null, v18, s9, v[0:1]
	v_sub_nc_u32_e32 v0, v2, v12
	s_delay_alu instid0(VALU_DEP_3) | instskip(SKIP_1) | instid1(VALU_DEP_4)
	v_lshlrev_b64 v[5:6], 2, v[10:11]
	v_mov_b32_e32 v16, v7
	v_mov_b32_e32 v14, v8
	s_delay_alu instid0(VALU_DEP_2) | instskip(NEXT) | instid1(VALU_DEP_4)
	v_lshlrev_b64 v[7:8], 2, v[15:16]
	v_add_co_u32 v2, vcc_lo, s20, v5
	v_add_co_ci_u32_e32 v9, vcc_lo, s21, v6, vcc_lo
	s_delay_alu instid0(VALU_DEP_4) | instskip(NEXT) | instid1(VALU_DEP_3)
	v_lshlrev_b64 v[5:6], 2, v[13:14]
	v_add_co_u32 v2, vcc_lo, v2, v7
	s_delay_alu instid0(VALU_DEP_3) | instskip(SKIP_1) | instid1(VALU_DEP_3)
	v_add_co_ci_u32_e32 v9, vcc_lo, v9, v8, vcc_lo
	v_lshlrev_b64 v[7:8], 2, v[0:1]
	v_add_co_u32 v2, vcc_lo, v2, v5
	s_delay_alu instid0(VALU_DEP_3) | instskip(SKIP_1) | instid1(VALU_DEP_3)
	v_add_co_ci_u32_e32 v6, vcc_lo, v9, v6, vcc_lo
	v_lshlrev_b64 v[0:1], 1, v[0:1]
	v_add_co_u32 v5, vcc_lo, v2, v7
	s_delay_alu instid0(VALU_DEP_3) | instskip(SKIP_3) | instid1(VALU_DEP_1)
	v_add_co_ci_u32_e32 v6, vcc_lo, v6, v8, vcc_lo
	v_mad_u64_u32 v[7:8], null, v18, s0, 0
	global_load_b32 v14, v[5:6], off
	v_mad_u64_u32 v[5:6], null, v19, s18, 0
	v_mov_b32_e32 v2, v6
	s_waitcnt vmcnt(1)
	v_mul_lo_u32 v4, v4, s16
	v_mul_lo_u32 v13, v3, s17
	v_mad_u64_u32 v[9:10], null, v3, s16, 0
	v_mov_b32_e32 v3, v8
	s_delay_alu instid0(VALU_DEP_1) | instskip(NEXT) | instid1(VALU_DEP_3)
	v_mad_u64_u32 v[11:12], null, v19, s19, v[2:3]
	v_add3_u32 v10, v10, v13, v4
	v_mad_u64_u32 v[12:13], null, v18, s1, v[3:4]
	s_delay_alu instid0(VALU_DEP_2) | instskip(NEXT) | instid1(VALU_DEP_4)
	v_lshlrev_b64 v[2:3], 1, v[9:10]
	v_mov_b32_e32 v6, v11
	s_delay_alu instid0(VALU_DEP_3) | instskip(NEXT) | instid1(VALU_DEP_2)
	v_mov_b32_e32 v8, v12
	v_lshlrev_b64 v[4:5], 1, v[5:6]
	s_delay_alu instid0(VALU_DEP_4) | instskip(SKIP_1) | instid1(VALU_DEP_4)
	v_add_co_u32 v6, vcc_lo, s24, v2
	v_add_co_ci_u32_e32 v9, vcc_lo, s25, v3, vcc_lo
	v_lshlrev_b64 v[2:3], 1, v[7:8]
	s_delay_alu instid0(VALU_DEP_3) | instskip(NEXT) | instid1(VALU_DEP_3)
	v_add_co_u32 v4, vcc_lo, v6, v4
	v_add_co_ci_u32_e32 v5, vcc_lo, v9, v5, vcc_lo
	s_delay_alu instid0(VALU_DEP_2) | instskip(NEXT) | instid1(VALU_DEP_2)
	v_add_co_u32 v2, vcc_lo, v4, v2
	v_add_co_ci_u32_e32 v3, vcc_lo, v5, v3, vcc_lo
	s_delay_alu instid0(VALU_DEP_2) | instskip(NEXT) | instid1(VALU_DEP_2)
	v_add_co_u32 v0, vcc_lo, v2, v0
	v_add_co_ci_u32_e32 v1, vcc_lo, v3, v1, vcc_lo
	s_waitcnt vmcnt(0)
	v_cvt_f16_f32_e32 v4, v14
	global_store_b16 v[0:1], v4, off
.LBB1_2:
	s_nop 0
	s_sendmsg sendmsg(MSG_DEALLOC_VGPRS)
	s_endpgm
	.section	.rodata,"a",@progbits
	.p2align	6, 0x0
	.amdhsa_kernel _ZL10k_set_rowsIfl6__halfEvPKT_PKT0_PT1_llllllllllllll15HIP_vector_typeIjLj3EESA_SA_SA_SA_
		.amdhsa_group_segment_fixed_size 0
		.amdhsa_private_segment_fixed_size 0
		.amdhsa_kernarg_size 456
		.amdhsa_user_sgpr_count 15
		.amdhsa_user_sgpr_dispatch_ptr 0
		.amdhsa_user_sgpr_queue_ptr 0
		.amdhsa_user_sgpr_kernarg_segment_ptr 1
		.amdhsa_user_sgpr_dispatch_id 0
		.amdhsa_user_sgpr_private_segment_size 0
		.amdhsa_wavefront_size32 1
		.amdhsa_uses_dynamic_stack 0
		.amdhsa_enable_private_segment 0
		.amdhsa_system_sgpr_workgroup_id_x 1
		.amdhsa_system_sgpr_workgroup_id_y 0
		.amdhsa_system_sgpr_workgroup_id_z 0
		.amdhsa_system_sgpr_workgroup_info 0
		.amdhsa_system_vgpr_workitem_id 0
		.amdhsa_next_free_vgpr 21
		.amdhsa_next_free_sgpr 44
		.amdhsa_reserve_vcc 1
		.amdhsa_float_round_mode_32 0
		.amdhsa_float_round_mode_16_64 0
		.amdhsa_float_denorm_mode_32 3
		.amdhsa_float_denorm_mode_16_64 3
		.amdhsa_dx10_clamp 1
		.amdhsa_ieee_mode 1
		.amdhsa_fp16_overflow 0
		.amdhsa_workgroup_processor_mode 1
		.amdhsa_memory_ordered 1
		.amdhsa_forward_progress 0
		.amdhsa_shared_vgpr_count 0
		.amdhsa_exception_fp_ieee_invalid_op 0
		.amdhsa_exception_fp_denorm_src 0
		.amdhsa_exception_fp_ieee_div_zero 0
		.amdhsa_exception_fp_ieee_overflow 0
		.amdhsa_exception_fp_ieee_underflow 0
		.amdhsa_exception_fp_ieee_inexact 0
		.amdhsa_exception_int_div_zero 0
	.end_amdhsa_kernel
	.section	.text._ZL10k_set_rowsIfl6__halfEvPKT_PKT0_PT1_llllllllllllll15HIP_vector_typeIjLj3EESA_SA_SA_SA_,"axG",@progbits,_ZL10k_set_rowsIfl6__halfEvPKT_PKT0_PT1_llllllllllllll15HIP_vector_typeIjLj3EESA_SA_SA_SA_,comdat
.Lfunc_end1:
	.size	_ZL10k_set_rowsIfl6__halfEvPKT_PKT0_PT1_llllllllllllll15HIP_vector_typeIjLj3EESA_SA_SA_SA_, .Lfunc_end1-_ZL10k_set_rowsIfl6__halfEvPKT_PKT0_PT1_llllllllllllll15HIP_vector_typeIjLj3EESA_SA_SA_SA_
                                        ; -- End function
	.section	.AMDGPU.csdata,"",@progbits
; Kernel info:
; codeLenInByte = 876
; NumSgprs: 46
; NumVgprs: 21
; ScratchSize: 0
; MemoryBound: 0
; FloatMode: 240
; IeeeMode: 1
; LDSByteSize: 0 bytes/workgroup (compile time only)
; SGPRBlocks: 5
; VGPRBlocks: 2
; NumSGPRsForWavesPerEU: 46
; NumVGPRsForWavesPerEU: 21
; Occupancy: 16
; WaveLimiterHint : 1
; COMPUTE_PGM_RSRC2:SCRATCH_EN: 0
; COMPUTE_PGM_RSRC2:USER_SGPR: 15
; COMPUTE_PGM_RSRC2:TRAP_HANDLER: 0
; COMPUTE_PGM_RSRC2:TGID_X_EN: 1
; COMPUTE_PGM_RSRC2:TGID_Y_EN: 0
; COMPUTE_PGM_RSRC2:TGID_Z_EN: 0
; COMPUTE_PGM_RSRC2:TIDIG_COMP_CNT: 0
	.section	.text._ZL10k_set_rowsIfl14__hip_bfloat16EvPKT_PKT0_PT1_llllllllllllll15HIP_vector_typeIjLj3EESA_SA_SA_SA_,"axG",@progbits,_ZL10k_set_rowsIfl14__hip_bfloat16EvPKT_PKT0_PT1_llllllllllllll15HIP_vector_typeIjLj3EESA_SA_SA_SA_,comdat
	.globl	_ZL10k_set_rowsIfl14__hip_bfloat16EvPKT_PKT0_PT1_llllllllllllll15HIP_vector_typeIjLj3EESA_SA_SA_SA_ ; -- Begin function _ZL10k_set_rowsIfl14__hip_bfloat16EvPKT_PKT0_PT1_llllllllllllll15HIP_vector_typeIjLj3EESA_SA_SA_SA_
	.p2align	8
	.type	_ZL10k_set_rowsIfl14__hip_bfloat16EvPKT_PKT0_PT1_llllllllllllll15HIP_vector_typeIjLj3EESA_SA_SA_SA_,@function
_ZL10k_set_rowsIfl14__hip_bfloat16EvPKT_PKT0_PT1_llllllllllllll15HIP_vector_typeIjLj3EESA_SA_SA_SA_: ; @_ZL10k_set_rowsIfl14__hip_bfloat16EvPKT_PKT0_PT1_llllllllllllll15HIP_vector_typeIjLj3EESA_SA_SA_SA_
; %bb.0:
	s_clause 0x1
	s_load_b32 s2, s[0:1], 0xd4
	s_load_b256 s[20:27], s[0:1], 0x0
	v_mov_b32_e32 v1, 0
	s_waitcnt lgkmcnt(0)
	s_and_b32 s2, s2, 0xffff
	s_delay_alu instid0(VALU_DEP_1) | instid1(SALU_CYCLE_1)
	v_mad_u64_u32 v[2:3], null, s2, s15, v[0:1]
	s_mov_b32 s2, exec_lo
	s_delay_alu instid0(VALU_DEP_1)
	v_cmpx_gt_i64_e64 s[26:27], v[2:3]
	s_cbranch_execz .LBB2_6
; %bb.1:
	s_clause 0x4
	s_load_b256 s[36:43], s[0:1], 0x88
	s_load_b128 s[28:31], s[0:1], 0xa8
	s_load_b32 s26, s[0:1], 0xc0
	s_load_b64 s[2:3], s[0:1], 0xb8
	s_load_b512 s[4:19], s[0:1], 0x40
	s_waitcnt lgkmcnt(0)
	v_mul_hi_u32 v0, v2, s36
	s_delay_alu instid0(VALU_DEP_1) | instskip(NEXT) | instid1(VALU_DEP_1)
	v_add_nc_u32_e32 v0, v0, v2
	v_lshrrev_b32_e32 v0, s37, v0
	s_delay_alu instid0(VALU_DEP_1) | instskip(SKIP_1) | instid1(VALU_DEP_2)
	v_mul_hi_u32 v3, v0, s39
	v_mul_lo_u32 v6, v0, s38
	v_add_nc_u32_e32 v3, v0, v3
	s_delay_alu instid0(VALU_DEP_1) | instskip(NEXT) | instid1(VALU_DEP_1)
	v_lshrrev_b32_e32 v3, s40, v3
	v_mul_hi_u32 v4, v3, s42
	v_mul_lo_u32 v5, v3, s41
	s_delay_alu instid0(VALU_DEP_2) | instskip(NEXT) | instid1(VALU_DEP_2)
	v_add_nc_u32_e32 v4, v3, v4
	v_sub_nc_u32_e32 v17, v0, v5
	v_sub_nc_u32_e32 v0, v2, v6
	s_delay_alu instid0(VALU_DEP_3) | instskip(NEXT) | instid1(VALU_DEP_2)
	v_lshrrev_b32_e32 v4, s43, v4
	v_lshlrev_b64 v[8:9], 2, v[0:1]
	s_delay_alu instid0(VALU_DEP_2) | instskip(SKIP_1) | instid1(VALU_DEP_2)
	v_mul_lo_u32 v7, v4, s28
	v_mul_hi_u32 v10, v4, s2
	v_sub_nc_u32_e32 v5, v3, v7
	v_mad_u64_u32 v[6:7], null, v17, s4, 0
	s_delay_alu instid0(VALU_DEP_3) | instskip(SKIP_1) | instid1(VALU_DEP_4)
	v_add_nc_u32_e32 v13, v4, v10
	v_mad_u64_u32 v[10:11], null, v4, s8, 0
	v_mul_hi_u32 v12, v5, s29
	v_mad_u64_u32 v[2:3], null, v17, s10, 0
	v_mad_u64_u32 v[14:15], null, v17, s5, v[7:8]
	v_lshrrev_b32_e32 v16, s3, v13
	s_delay_alu instid0(VALU_DEP_4) | instskip(SKIP_1) | instid1(VALU_DEP_3)
	v_dual_mov_b32 v7, v11 :: v_dual_add_nc_u32 v18, v5, v12
	v_mad_u64_u32 v[12:13], null, v5, s6, 0
	v_mul_lo_u32 v19, v16, s26
	v_mad_u64_u32 v[15:16], null, v17, s11, v[3:4]
	s_delay_alu instid0(VALU_DEP_4) | instskip(SKIP_4) | instid1(VALU_DEP_4)
	v_mad_u64_u32 v[16:17], null, v4, s9, v[7:8]
	v_mov_b32_e32 v7, v14
	v_lshrrev_b32_e32 v18, s30, v18
	v_mov_b32_e32 v3, v13
	v_sub_nc_u32_e32 v20, v4, v19
	v_lshlrev_b64 v[6:7], 2, v[6:7]
	s_delay_alu instid0(VALU_DEP_4) | instskip(NEXT) | instid1(VALU_DEP_4)
	v_mul_lo_u32 v11, v18, s31
	v_mad_u64_u32 v[13:14], null, v5, s7, v[3:4]
	s_delay_alu instid0(VALU_DEP_4)
	v_mad_u64_u32 v[17:18], null, v20, s14, 0
	v_mov_b32_e32 v3, v15
	v_add_co_u32 v22, vcc_lo, s20, v6
	v_sub_nc_u32_e32 v21, v5, v11
	v_mov_b32_e32 v11, v16
	v_lshlrev_b64 v[12:13], 2, v[12:13]
	v_mov_b32_e32 v16, v18
	v_add_co_ci_u32_e32 v7, vcc_lo, s21, v7, vcc_lo
	v_mad_u64_u32 v[14:15], null, v21, s12, 0
	v_lshlrev_b64 v[10:11], 2, v[10:11]
	s_delay_alu instid0(VALU_DEP_4) | instskip(SKIP_1) | instid1(VALU_DEP_4)
	v_mad_u64_u32 v[18:19], null, v20, s15, v[16:17]
	v_lshlrev_b64 v[2:3], 3, v[2:3]
	v_mov_b32_e32 v6, v15
	s_delay_alu instid0(VALU_DEP_1) | instskip(SKIP_2) | instid1(VALU_DEP_2)
	v_mad_u64_u32 v[15:16], null, v21, s13, v[6:7]
	v_add_co_u32 v6, vcc_lo, v22, v12
	v_add_co_ci_u32_e32 v7, vcc_lo, v7, v13, vcc_lo
	v_add_co_u32 v6, vcc_lo, v6, v10
	s_delay_alu instid0(VALU_DEP_2) | instskip(NEXT) | instid1(VALU_DEP_2)
	v_add_co_ci_u32_e32 v7, vcc_lo, v7, v11, vcc_lo
	v_add_co_u32 v6, vcc_lo, v6, v8
	s_delay_alu instid0(VALU_DEP_2)
	v_add_co_ci_u32_e32 v7, vcc_lo, v7, v9, vcc_lo
	v_lshlrev_b64 v[8:9], 3, v[14:15]
	v_add_co_u32 v10, vcc_lo, s22, v2
	v_add_co_ci_u32_e32 v11, vcc_lo, s23, v3, vcc_lo
	v_lshlrev_b64 v[2:3], 3, v[17:18]
	global_load_b32 v7, v[6:7], off
	v_add_co_u32 v6, vcc_lo, v10, v8
	v_add_co_ci_u32_e32 v8, vcc_lo, v11, v9, vcc_lo
	s_delay_alu instid0(VALU_DEP_2) | instskip(NEXT) | instid1(VALU_DEP_2)
	v_add_co_u32 v2, vcc_lo, v6, v2
	v_add_co_ci_u32_e32 v3, vcc_lo, v8, v3, vcc_lo
	global_load_b64 v[2:3], v[2:3], off
	s_waitcnt vmcnt(1)
	v_and_b32_e32 v6, 0x7f800000, v7
	s_delay_alu instid0(VALU_DEP_1) | instskip(SKIP_1) | instid1(SALU_CYCLE_1)
	v_cmp_ne_u32_e32 vcc_lo, 0x7f800000, v6
                                        ; implicit-def: $vgpr6
	s_and_saveexec_b32 s2, vcc_lo
	s_xor_b32 s2, exec_lo, s2
; %bb.2:
	v_bfe_u32 v6, v7, 16, 1
	s_delay_alu instid0(VALU_DEP_1)
	v_add3_u32 v6, v7, v6, 0x7fff
                                        ; implicit-def: $vgpr7
; %bb.3:
	s_and_not1_saveexec_b32 s2, s2
; %bb.4:
	v_and_b32_e32 v6, 0xffff, v7
	v_or_b32_e32 v8, 0x10000, v7
	s_delay_alu instid0(VALU_DEP_2) | instskip(NEXT) | instid1(VALU_DEP_2)
	v_cmp_eq_u32_e32 vcc_lo, 0, v6
	v_cndmask_b32_e32 v6, v8, v7, vcc_lo
; %bb.5:
	s_or_b32 exec_lo, exec_lo, s2
	s_load_b64 s[0:1], s[0:1], 0x80
	v_mad_u64_u32 v[7:8], null, v5, s18, 0
	s_waitcnt vmcnt(0)
	v_mul_lo_u32 v15, v3, s16
	v_mul_lo_u32 v16, v2, s17
	v_mad_u64_u32 v[11:12], null, v2, s16, 0
	v_lshlrev_b64 v[0:1], 1, v[0:1]
	s_delay_alu instid0(VALU_DEP_2) | instskip(SKIP_2) | instid1(VALU_DEP_1)
	v_add3_u32 v12, v12, v16, v15
	s_waitcnt lgkmcnt(0)
	v_mad_u64_u32 v[9:10], null, v4, s0, 0
	v_dual_mov_b32 v3, v8 :: v_dual_mov_b32 v2, v10
	s_delay_alu instid0(VALU_DEP_1) | instskip(NEXT) | instid1(VALU_DEP_2)
	v_mad_u64_u32 v[13:14], null, v5, s19, v[3:4]
	v_mad_u64_u32 v[14:15], null, v4, s1, v[2:3]
	v_lshlrev_b64 v[2:3], 1, v[11:12]
	s_delay_alu instid0(VALU_DEP_3) | instskip(NEXT) | instid1(VALU_DEP_3)
	v_mov_b32_e32 v8, v13
	v_mov_b32_e32 v10, v14
	s_delay_alu instid0(VALU_DEP_2) | instskip(NEXT) | instid1(VALU_DEP_4)
	v_lshlrev_b64 v[4:5], 1, v[7:8]
	v_add_co_u32 v7, vcc_lo, s24, v2
	v_add_co_ci_u32_e32 v8, vcc_lo, s25, v3, vcc_lo
	s_delay_alu instid0(VALU_DEP_4) | instskip(NEXT) | instid1(VALU_DEP_3)
	v_lshlrev_b64 v[2:3], 1, v[9:10]
	v_add_co_u32 v4, vcc_lo, v7, v4
	s_delay_alu instid0(VALU_DEP_3) | instskip(NEXT) | instid1(VALU_DEP_2)
	v_add_co_ci_u32_e32 v5, vcc_lo, v8, v5, vcc_lo
	v_add_co_u32 v2, vcc_lo, v4, v2
	s_delay_alu instid0(VALU_DEP_2) | instskip(NEXT) | instid1(VALU_DEP_2)
	v_add_co_ci_u32_e32 v3, vcc_lo, v5, v3, vcc_lo
	v_add_co_u32 v0, vcc_lo, v2, v0
	s_delay_alu instid0(VALU_DEP_2)
	v_add_co_ci_u32_e32 v1, vcc_lo, v3, v1, vcc_lo
	global_store_d16_hi_b16 v[0:1], v6, off
.LBB2_6:
	s_nop 0
	s_sendmsg sendmsg(MSG_DEALLOC_VGPRS)
	s_endpgm
	.section	.rodata,"a",@progbits
	.p2align	6, 0x0
	.amdhsa_kernel _ZL10k_set_rowsIfl14__hip_bfloat16EvPKT_PKT0_PT1_llllllllllllll15HIP_vector_typeIjLj3EESA_SA_SA_SA_
		.amdhsa_group_segment_fixed_size 0
		.amdhsa_private_segment_fixed_size 0
		.amdhsa_kernarg_size 456
		.amdhsa_user_sgpr_count 15
		.amdhsa_user_sgpr_dispatch_ptr 0
		.amdhsa_user_sgpr_queue_ptr 0
		.amdhsa_user_sgpr_kernarg_segment_ptr 1
		.amdhsa_user_sgpr_dispatch_id 0
		.amdhsa_user_sgpr_private_segment_size 0
		.amdhsa_wavefront_size32 1
		.amdhsa_uses_dynamic_stack 0
		.amdhsa_enable_private_segment 0
		.amdhsa_system_sgpr_workgroup_id_x 1
		.amdhsa_system_sgpr_workgroup_id_y 0
		.amdhsa_system_sgpr_workgroup_id_z 0
		.amdhsa_system_sgpr_workgroup_info 0
		.amdhsa_system_vgpr_workitem_id 0
		.amdhsa_next_free_vgpr 23
		.amdhsa_next_free_sgpr 44
		.amdhsa_reserve_vcc 1
		.amdhsa_float_round_mode_32 0
		.amdhsa_float_round_mode_16_64 0
		.amdhsa_float_denorm_mode_32 3
		.amdhsa_float_denorm_mode_16_64 3
		.amdhsa_dx10_clamp 1
		.amdhsa_ieee_mode 1
		.amdhsa_fp16_overflow 0
		.amdhsa_workgroup_processor_mode 1
		.amdhsa_memory_ordered 1
		.amdhsa_forward_progress 0
		.amdhsa_shared_vgpr_count 0
		.amdhsa_exception_fp_ieee_invalid_op 0
		.amdhsa_exception_fp_denorm_src 0
		.amdhsa_exception_fp_ieee_div_zero 0
		.amdhsa_exception_fp_ieee_overflow 0
		.amdhsa_exception_fp_ieee_underflow 0
		.amdhsa_exception_fp_ieee_inexact 0
		.amdhsa_exception_int_div_zero 0
	.end_amdhsa_kernel
	.section	.text._ZL10k_set_rowsIfl14__hip_bfloat16EvPKT_PKT0_PT1_llllllllllllll15HIP_vector_typeIjLj3EESA_SA_SA_SA_,"axG",@progbits,_ZL10k_set_rowsIfl14__hip_bfloat16EvPKT_PKT0_PT1_llllllllllllll15HIP_vector_typeIjLj3EESA_SA_SA_SA_,comdat
.Lfunc_end2:
	.size	_ZL10k_set_rowsIfl14__hip_bfloat16EvPKT_PKT0_PT1_llllllllllllll15HIP_vector_typeIjLj3EESA_SA_SA_SA_, .Lfunc_end2-_ZL10k_set_rowsIfl14__hip_bfloat16EvPKT_PKT0_PT1_llllllllllllll15HIP_vector_typeIjLj3EESA_SA_SA_SA_
                                        ; -- End function
	.section	.AMDGPU.csdata,"",@progbits
; Kernel info:
; codeLenInByte = 920
; NumSgprs: 46
; NumVgprs: 23
; ScratchSize: 0
; MemoryBound: 0
; FloatMode: 240
; IeeeMode: 1
; LDSByteSize: 0 bytes/workgroup (compile time only)
; SGPRBlocks: 5
; VGPRBlocks: 2
; NumSGPRsForWavesPerEU: 46
; NumVGPRsForWavesPerEU: 23
; Occupancy: 16
; WaveLimiterHint : 1
; COMPUTE_PGM_RSRC2:SCRATCH_EN: 0
; COMPUTE_PGM_RSRC2:USER_SGPR: 15
; COMPUTE_PGM_RSRC2:TRAP_HANDLER: 0
; COMPUTE_PGM_RSRC2:TGID_X_EN: 1
; COMPUTE_PGM_RSRC2:TGID_Y_EN: 0
; COMPUTE_PGM_RSRC2:TGID_Z_EN: 0
; COMPUTE_PGM_RSRC2:TIDIG_COMP_CNT: 0
	.section	.text._ZL16k_set_rows_quantIl10block_q4_0Li32ETnPFvPKfPT0_EXadL_ZL23quantize_f32_q4_0_blockS2_PS0_EEEvS2_PKT_S4_llllllllllllll15HIP_vector_typeIjLj3EESC_SC_SC_SC_,"axG",@progbits,_ZL16k_set_rows_quantIl10block_q4_0Li32ETnPFvPKfPT0_EXadL_ZL23quantize_f32_q4_0_blockS2_PS0_EEEvS2_PKT_S4_llllllllllllll15HIP_vector_typeIjLj3EESC_SC_SC_SC_,comdat
	.globl	_ZL16k_set_rows_quantIl10block_q4_0Li32ETnPFvPKfPT0_EXadL_ZL23quantize_f32_q4_0_blockS2_PS0_EEEvS2_PKT_S4_llllllllllllll15HIP_vector_typeIjLj3EESC_SC_SC_SC_ ; -- Begin function _ZL16k_set_rows_quantIl10block_q4_0Li32ETnPFvPKfPT0_EXadL_ZL23quantize_f32_q4_0_blockS2_PS0_EEEvS2_PKT_S4_llllllllllllll15HIP_vector_typeIjLj3EESC_SC_SC_SC_
	.p2align	8
	.type	_ZL16k_set_rows_quantIl10block_q4_0Li32ETnPFvPKfPT0_EXadL_ZL23quantize_f32_q4_0_blockS2_PS0_EEEvS2_PKT_S4_llllllllllllll15HIP_vector_typeIjLj3EESC_SC_SC_SC_,@function
_ZL16k_set_rows_quantIl10block_q4_0Li32ETnPFvPKfPT0_EXadL_ZL23quantize_f32_q4_0_blockS2_PS0_EEEvS2_PKT_S4_llllllllllllll15HIP_vector_typeIjLj3EESC_SC_SC_SC_: ; @_ZL16k_set_rows_quantIl10block_q4_0Li32ETnPFvPKfPT0_EXadL_ZL23quantize_f32_q4_0_blockS2_PS0_EEEvS2_PKT_S4_llllllllllllll15HIP_vector_typeIjLj3EESC_SC_SC_SC_
; %bb.0:
	s_clause 0x1
	s_load_b32 s4, s[0:1], 0xd4
	s_load_b64 s[2:3], s[0:1], 0x18
	v_mov_b32_e32 v1, 0
	s_waitcnt lgkmcnt(0)
	s_and_b32 s4, s4, 0xffff
	s_delay_alu instid0(VALU_DEP_1) | instid1(SALU_CYCLE_1)
	v_mad_u64_u32 v[2:3], null, s4, s15, v[0:1]
	s_delay_alu instid0(VALU_DEP_1)
	v_cmp_gt_i64_e32 vcc_lo, s[2:3], v[2:3]
	s_and_saveexec_b32 s2, vcc_lo
	s_cbranch_execz .LBB3_2
; %bb.1:
	s_load_b256 s[20:27], s[0:1], 0x88
	v_lshlrev_b32_e32 v13, 5, v2
	s_clause 0x2
	s_load_b128 s[28:31], s[0:1], 0xa8
	s_load_b512 s[4:19], s[0:1], 0x40
	s_load_b64 s[2:3], s[0:1], 0x10
	s_waitcnt lgkmcnt(0)
	v_mul_hi_u32 v0, s20, v13
	s_delay_alu instid0(VALU_DEP_1) | instskip(NEXT) | instid1(VALU_DEP_1)
	v_add_nc_u32_e32 v0, v13, v0
	v_lshrrev_b32_e32 v12, s21, v0
	s_delay_alu instid0(VALU_DEP_1) | instskip(NEXT) | instid1(VALU_DEP_1)
	v_mul_hi_u32 v0, v12, s23
	v_add_nc_u32_e32 v0, v12, v0
	s_delay_alu instid0(VALU_DEP_1) | instskip(NEXT) | instid1(VALU_DEP_1)
	v_lshrrev_b32_e32 v0, s24, v0
	v_mul_hi_u32 v2, v0, s26
	s_delay_alu instid0(VALU_DEP_1) | instskip(NEXT) | instid1(VALU_DEP_1)
	v_add_nc_u32_e32 v2, v0, v2
	v_lshrrev_b32_e32 v39, s27, v2
	v_mul_lo_u32 v2, v0, s25
	s_load_b128 s[24:27], s[0:1], 0x0
	s_delay_alu instid0(VALU_DEP_2) | instskip(SKIP_1) | instid1(VALU_DEP_3)
	v_mul_lo_u32 v3, v39, s28
	v_mad_u64_u32 v[6:7], null, v39, s8, 0
	v_sub_nc_u32_e32 v23, v12, v2
	s_delay_alu instid0(VALU_DEP_3) | instskip(NEXT) | instid1(VALU_DEP_2)
	v_sub_nc_u32_e32 v9, v0, v3
	v_mad_u64_u32 v[2:3], null, v23, s4, 0
	v_mad_u64_u32 v[26:27], null, v23, s10, 0
	s_delay_alu instid0(VALU_DEP_3) | instskip(SKIP_2) | instid1(VALU_DEP_2)
	v_mad_u64_u32 v[4:5], null, v9, s6, 0
	v_mul_hi_u32 v22, v9, s29
	s_load_b32 s6, s[0:1], 0xc0
	v_dual_mov_b32 v0, v3 :: v_dual_mov_b32 v3, v5
	s_delay_alu instid0(VALU_DEP_1) | instskip(SKIP_1) | instid1(VALU_DEP_3)
	v_mad_u64_u32 v[10:11], null, v23, s5, v[0:1]
	s_load_b64 s[4:5], s[0:1], 0xb8
	v_add_nc_u32_e32 v22, v9, v22
	s_load_b64 s[0:1], s[0:1], 0x80
	s_delay_alu instid0(VALU_DEP_1) | instskip(NEXT) | instid1(VALU_DEP_1)
	v_lshrrev_b32_e32 v22, s30, v22
	v_mul_lo_u32 v22, v22, s31
	s_delay_alu instid0(VALU_DEP_1)
	v_sub_nc_u32_e32 v25, v9, v22
	s_waitcnt lgkmcnt(0)
	v_mul_hi_u32 v24, v39, s4
	v_mov_b32_e32 v22, v27
	s_add_u32 s4, 0, 0x38e27e00
	v_mad_u64_u32 v[28:29], null, v25, s12, 0
	s_delay_alu instid0(VALU_DEP_2) | instskip(NEXT) | instid1(VALU_DEP_4)
	v_mad_u64_u32 v[34:35], null, v23, s11, v[22:23]
	v_add_nc_u32_e32 v24, v39, v24
	s_delay_alu instid0(VALU_DEP_3) | instskip(NEXT) | instid1(VALU_DEP_2)
	v_mov_b32_e32 v22, v29
	v_lshrrev_b32_e32 v24, s5, v24
	s_delay_alu instid0(VALU_DEP_4) | instskip(SKIP_1) | instid1(VALU_DEP_3)
	v_mov_b32_e32 v27, v34
	s_addc_u32 s5, 0, 62
	v_mad_u64_u32 v[35:36], null, v25, s13, v[22:23]
	s_delay_alu instid0(VALU_DEP_3) | instskip(NEXT) | instid1(VALU_DEP_3)
	v_mul_lo_u32 v24, v24, s6
	v_lshlrev_b64 v[26:27], 3, v[26:27]
	s_add_i32 s5, s5, 0xe38e350
	s_mul_i32 s6, s4, 0xffffffee
	s_delay_alu instid0(SALU_CYCLE_1) | instskip(NEXT) | instid1(VALU_DEP_2)
	s_mul_hi_u32 s8, s5, s6
	v_sub_nc_u32_e32 v37, v39, v24
	s_delay_alu instid0(VALU_DEP_1)
	v_mad_u64_u32 v[32:33], null, v37, s14, 0
	v_mov_b32_e32 v0, v7
	v_mad_u64_u32 v[7:8], null, v9, s7, v[3:4]
	v_mov_b32_e32 v3, v10
	v_mul_lo_u32 v8, v12, s22
	s_mul_hi_u32 s7, s4, s6
	v_mov_b32_e32 v29, v33
	v_mad_u64_u32 v[11:12], null, v39, s9, v[0:1]
	v_mov_b32_e32 v5, v7
	v_lshlrev_b64 v[2:3], 2, v[2:3]
	s_mul_i32 s9, s5, 0xffffffee
	v_sub_nc_u32_e32 v0, v13, v8
	s_delay_alu instid0(VALU_DEP_3) | instskip(SKIP_1) | instid1(VALU_DEP_4)
	v_lshlrev_b64 v[4:5], 2, v[4:5]
	v_mov_b32_e32 v7, v11
	v_add_co_u32 v8, vcc_lo, s24, v2
	v_add_co_ci_u32_e32 v10, vcc_lo, s25, v3, vcc_lo
	s_delay_alu instid0(VALU_DEP_3) | instskip(NEXT) | instid1(VALU_DEP_3)
	v_lshlrev_b64 v[2:3], 2, v[6:7]
	v_add_co_u32 v6, vcc_lo, v8, v4
	s_delay_alu instid0(VALU_DEP_3) | instskip(SKIP_1) | instid1(VALU_DEP_3)
	v_add_co_ci_u32_e32 v7, vcc_lo, v10, v5, vcc_lo
	v_lshlrev_b64 v[4:5], 2, v[0:1]
	v_add_co_u32 v1, vcc_lo, v6, v2
	s_delay_alu instid0(VALU_DEP_3) | instskip(SKIP_1) | instid1(VALU_DEP_3)
	v_add_co_ci_u32_e32 v2, vcc_lo, v7, v3, vcc_lo
	v_lshrrev_b32_e32 v0, 5, v0
	v_add_co_u32 v30, vcc_lo, v1, v4
	s_delay_alu instid0(VALU_DEP_3)
	v_add_co_ci_u32_e32 v31, vcc_lo, v2, v5, vcc_lo
	s_clause 0x5
	global_load_b128 v[10:13], v[30:31], off
	global_load_b128 v[14:17], v[30:31], off offset:16
	global_load_b128 v[5:8], v[30:31], off offset:32
	;; [unrolled: 1-line block ×5, first 2 shown]
	v_mad_u64_u32 v[33:34], null, v37, s15, v[29:30]
	v_mov_b32_e32 v29, v35
	v_add_co_u32 v34, vcc_lo, s26, v26
	v_add_co_ci_u32_e32 v35, vcc_lo, s27, v27, vcc_lo
	s_delay_alu instid0(VALU_DEP_3) | instskip(SKIP_1) | instid1(VALU_DEP_2)
	v_lshlrev_b64 v[28:29], 3, v[28:29]
	v_lshlrev_b64 v[26:27], 3, v[32:33]
	v_add_co_u32 v28, vcc_lo, v34, v28
	s_delay_alu instid0(VALU_DEP_3) | instskip(NEXT) | instid1(VALU_DEP_2)
	v_add_co_ci_u32_e32 v29, vcc_lo, v35, v29, vcc_lo
	v_add_co_u32 v26, vcc_lo, v28, v26
	s_delay_alu instid0(VALU_DEP_2)
	v_add_co_ci_u32_e32 v27, vcc_lo, v29, v27, vcc_lo
	global_load_b64 v[34:35], v[26:27], off
	s_clause 0x1
	global_load_b128 v[26:29], v[30:31], off offset:96
	global_load_b128 v[30:33], v[30:31], off offset:112
	s_waitcnt vmcnt(8)
	v_cmp_lg_f32_e32 vcc_lo, 0, v10
	v_cndmask_b32_e64 v37, 0, |v10|, vcc_lo
	v_cndmask_b32_e32 v36, 0, v10, vcc_lo
	s_delay_alu instid0(VALU_DEP_2) | instskip(NEXT) | instid1(VALU_DEP_1)
	v_cmp_lt_f32_e64 vcc_lo, v37, |v11|
	v_cndmask_b32_e64 v37, v37, |v11|, vcc_lo
	s_delay_alu instid0(VALU_DEP_3) | instskip(NEXT) | instid1(VALU_DEP_2)
	v_cndmask_b32_e32 v36, v36, v11, vcc_lo
	v_cmp_lt_f32_e64 vcc_lo, v37, |v12|
	s_delay_alu instid0(VALU_DEP_1) | instskip(NEXT) | instid1(VALU_DEP_3)
	v_cndmask_b32_e64 v37, v37, |v12|, vcc_lo
	v_cndmask_b32_e32 v36, v36, v12, vcc_lo
	s_waitcnt vmcnt(2)
	v_mul_lo_u32 v40, v35, s16
	s_delay_alu instid0(VALU_DEP_3) | instskip(SKIP_1) | instid1(VALU_DEP_2)
	v_cmp_lt_f32_e64 vcc_lo, v37, |v13|
	v_mul_lo_u32 v41, v34, s17
	v_cndmask_b32_e64 v37, v37, |v13|, vcc_lo
	v_cndmask_b32_e32 v36, v36, v13, vcc_lo
	s_delay_alu instid0(VALU_DEP_2) | instskip(NEXT) | instid1(VALU_DEP_1)
	v_cmp_lt_f32_e64 vcc_lo, v37, |v14|
	v_cndmask_b32_e64 v37, v37, |v14|, vcc_lo
	s_delay_alu instid0(VALU_DEP_3) | instskip(NEXT) | instid1(VALU_DEP_2)
	v_cndmask_b32_e32 v36, v36, v14, vcc_lo
	v_cmp_lt_f32_e64 vcc_lo, v37, |v15|
	s_delay_alu instid0(VALU_DEP_1) | instskip(NEXT) | instid1(VALU_DEP_3)
	v_cndmask_b32_e64 v37, v37, |v15|, vcc_lo
	v_cndmask_b32_e32 v36, v36, v15, vcc_lo
	s_delay_alu instid0(VALU_DEP_2) | instskip(NEXT) | instid1(VALU_DEP_1)
	v_cmp_lt_f32_e64 vcc_lo, v37, |v16|
	v_cndmask_b32_e64 v37, v37, |v16|, vcc_lo
	s_delay_alu instid0(VALU_DEP_3) | instskip(NEXT) | instid1(VALU_DEP_2)
	v_cndmask_b32_e32 v36, v36, v16, vcc_lo
	v_cmp_lt_f32_e64 vcc_lo, v37, |v17|
	s_delay_alu instid0(VALU_DEP_1) | instskip(NEXT) | instid1(VALU_DEP_3)
	;; [unrolled: 9-line block ×9, first 2 shown]
	v_cndmask_b32_e64 v37, v37, |v23|, vcc_lo
	v_cndmask_b32_e32 v36, v36, v23, vcc_lo
	s_delay_alu instid0(VALU_DEP_2) | instskip(NEXT) | instid1(VALU_DEP_1)
	v_cmp_lt_f32_e64 vcc_lo, v37, |v24|
	v_cndmask_b32_e64 v37, v37, |v24|, vcc_lo
	s_delay_alu instid0(VALU_DEP_3) | instskip(SKIP_1) | instid1(VALU_DEP_3)
	v_cndmask_b32_e32 v38, v36, v24, vcc_lo
	v_mad_u64_u32 v[35:36], null, v34, s16, 0
	v_cmp_lt_f32_e64 vcc_lo, v37, |v25|
	s_delay_alu instid0(VALU_DEP_1) | instskip(NEXT) | instid1(VALU_DEP_4)
	v_cndmask_b32_e64 v37, v37, |v25|, vcc_lo
	v_cndmask_b32_e32 v34, v38, v25, vcc_lo
	s_delay_alu instid0(VALU_DEP_4) | instskip(SKIP_1) | instid1(VALU_DEP_3)
	v_add3_u32 v36, v36, v41, v40
	s_waitcnt vmcnt(1)
	v_cmp_lt_f32_e64 vcc_lo, v37, |v26|
	s_delay_alu instid0(VALU_DEP_1) | instskip(SKIP_3) | instid1(VALU_DEP_3)
	v_cndmask_b32_e64 v40, v37, |v26|, vcc_lo
	v_cndmask_b32_e32 v34, v34, v26, vcc_lo
	v_mad_u64_u32 v[37:38], null, v39, s0, v[35:36]
	s_mul_hi_u32 s0, s4, 0xffffffee
	v_cmp_lt_f32_e64 vcc_lo, v40, |v27|
	s_sub_i32 s0, s0, s4
	s_delay_alu instid0(SALU_CYCLE_1) | instskip(NEXT) | instid1(VALU_DEP_1)
	s_add_i32 s0, s0, s9
	v_cndmask_b32_e64 v40, v40, |v27|, vcc_lo
	v_cndmask_b32_e32 v41, v34, v27, vcc_lo
	s_delay_alu instid0(VALU_DEP_4)
	v_mov_b32_e32 v34, v38
	s_mul_i32 s9, s4, s0
	s_mul_hi_u32 s10, s5, s0
	v_cmp_lt_f32_e64 vcc_lo, v40, |v28|
	s_add_u32 s7, s7, s9
	v_mad_u64_u32 v[35:36], null, v39, s1, v[34:35]
	s_mul_i32 s1, s5, s6
	s_delay_alu instid0(VALU_DEP_2)
	v_cndmask_b32_e64 v36, v40, |v28|, vcc_lo
	v_cndmask_b32_e32 v34, v41, v28, vcc_lo
	s_mul_hi_u32 s6, s4, s0
	s_mul_i32 s0, s5, s0
	s_addc_u32 s6, 0, s6
	v_cmp_lt_f32_e64 vcc_lo, v36, |v29|
	v_mov_b32_e32 v38, v35
	s_add_u32 s1, s7, s1
	s_addc_u32 s1, s6, s8
	s_addc_u32 s6, s10, 0
	v_cndmask_b32_e64 v36, v36, |v29|, vcc_lo
	v_cndmask_b32_e32 v39, v34, v29, vcc_lo
	v_mad_u64_u32 v[34:35], null, v9, s18, v[37:38]
	s_add_u32 s0, s1, s0
	s_waitcnt vmcnt(0)
	v_cmp_lt_f32_e64 vcc_lo, v36, |v30|
	v_add_co_u32 v41, s0, s4, s0
	s_addc_u32 s1, 0, s6
	s_cmp_lg_u32 s0, 0
	v_cndmask_b32_e32 v38, v39, v30, vcc_lo
	v_cndmask_b32_e64 v39, v36, |v30|, vcc_lo
	v_mad_u64_u32 v[36:37], null, v9, s19, v[35:36]
	s_addc_u32 s0, s5, s1
	v_mul_hi_u32 v42, v34, v41
	s_delay_alu instid0(VALU_DEP_3) | instskip(NEXT) | instid1(VALU_DEP_1)
	v_cmp_lt_f32_e64 vcc_lo, v39, |v31|
	v_cndmask_b32_e64 v35, v39, |v31|, vcc_lo
	v_cndmask_b32_e32 v9, v38, v31, vcc_lo
	v_mad_u64_u32 v[37:38], null, v34, s0, 0
	v_mad_u64_u32 v[39:40], null, v36, v41, 0
	s_delay_alu instid0(VALU_DEP_4) | instskip(NEXT) | instid1(VALU_DEP_1)
	v_cmp_lt_f32_e64 vcc_lo, v35, |v32|
	v_cndmask_b32_e64 v35, v35, |v32|, vcc_lo
	v_cndmask_b32_e32 v9, v9, v32, vcc_lo
	v_add_co_u32 v41, vcc_lo, v42, v37
	v_add_co_ci_u32_e32 v42, vcc_lo, 0, v38, vcc_lo
	s_delay_alu instid0(VALU_DEP_4) | instskip(SKIP_4) | instid1(VALU_DEP_3)
	v_cmp_lt_f32_e64 vcc_lo, v35, |v33|
	v_mad_u64_u32 v[37:38], null, v36, s0, 0
	v_cndmask_b32_e32 v9, v9, v33, vcc_lo
	v_add_co_u32 v35, vcc_lo, v41, v39
	v_add_co_ci_u32_e32 v35, vcc_lo, v42, v40, vcc_lo
	v_mul_f32_e32 v40, 0xbe000000, v9
	v_add_co_ci_u32_e32 v38, vcc_lo, 0, v38, vcc_lo
	s_delay_alu instid0(VALU_DEP_3) | instskip(NEXT) | instid1(VALU_DEP_3)
	v_add_co_u32 v66, vcc_lo, v35, v37
	v_div_scale_f32 v41, null, v40, v40, 1.0
	s_delay_alu instid0(VALU_DEP_3) | instskip(NEXT) | instid1(VALU_DEP_3)
	v_add_co_ci_u32_e32 v42, vcc_lo, 0, v38, vcc_lo
	v_mad_u64_u32 v[37:38], null, v66, 18, 0
	s_delay_alu instid0(VALU_DEP_3) | instskip(NEXT) | instid1(VALU_DEP_1)
	v_rcp_f32_e32 v43, v41
	v_mov_b32_e32 v35, v38
	s_delay_alu instid0(VALU_DEP_2) | instskip(SKIP_4) | instid1(VALU_DEP_3)
	v_sub_co_u32 v34, s0, v34, v37
	s_waitcnt_depctr 0xfff
	v_fma_f32 v44, -v41, v43, 1.0
	v_mad_u64_u32 v[38:39], null, v42, 18, v[35:36]
	v_div_scale_f32 v35, vcc_lo, 1.0, v40, 1.0
	v_fmac_f32_e32 v43, v44, v43
	v_add_co_u32 v44, s1, v66, 2
	s_delay_alu instid0(VALU_DEP_1) | instskip(NEXT) | instid1(VALU_DEP_3)
	v_add_co_ci_u32_e64 v45, s1, 0, v42, s1
	v_mul_f32_e32 v37, v35, v43
	v_sub_co_ci_u32_e64 v36, s0, v36, v38, s0
	v_sub_co_u32 v38, s0, v34, 18
	s_delay_alu instid0(VALU_DEP_3) | instskip(NEXT) | instid1(VALU_DEP_3)
	v_fma_f32 v39, -v41, v37, v35
	v_subrev_co_ci_u32_e64 v46, s0, 0, v36, s0
	s_delay_alu instid0(VALU_DEP_3) | instskip(NEXT) | instid1(VALU_DEP_3)
	v_cmp_lt_u32_e64 s0, 17, v38
	v_fmac_f32_e32 v37, v39, v43
	s_delay_alu instid0(VALU_DEP_2) | instskip(SKIP_1) | instid1(VALU_DEP_3)
	v_cndmask_b32_e64 v38, 0, -1, s0
	v_cmp_lt_u32_e64 s0, 17, v34
	v_fma_f32 v35, -v41, v37, v35
	s_delay_alu instid0(VALU_DEP_2) | instskip(NEXT) | instid1(VALU_DEP_2)
	v_cndmask_b32_e64 v34, 0, -1, s0
	v_div_fmas_f32 v35, v35, v43, v37
	v_add_co_u32 v37, vcc_lo, v66, 1
	v_add_co_ci_u32_e32 v39, vcc_lo, 0, v42, vcc_lo
	v_cmp_eq_u32_e64 s0, 0, v46
	v_cmp_eq_u32_e32 vcc_lo, 0, v36
	v_div_fixup_f32 v35, v35, v40, 1.0
	s_delay_alu instid0(VALU_DEP_3) | instskip(SKIP_2) | instid1(VALU_DEP_3)
	v_cndmask_b32_e64 v38, -1, v38, s0
	v_cndmask_b32_e32 v34, -1, v34, vcc_lo
	v_cmp_neq_f32_e32 vcc_lo, 0, v40
	v_cmp_ne_u32_e64 s0, 0, v38
	v_cndmask_b32_e32 v35, 0, v35, vcc_lo
	s_delay_alu instid0(VALU_DEP_2) | instskip(SKIP_1) | instid1(VALU_DEP_3)
	v_cndmask_b32_e64 v36, v39, v45, s0
	v_cndmask_b32_e64 v67, v37, v44, s0
	v_fmaak_f32 v3, v3, v35, 0x41080000
	v_cmp_ne_u32_e32 vcc_lo, 0, v34
	v_fmaak_f32 v10, v10, v35, 0x41080000
	v_fmaak_f32 v18, v18, v35, 0x41080000
	;; [unrolled: 1-line block ×16, first 2 shown]
	v_dual_cndmask_b32 v70, v42, v36 :: v_dual_fmaak_f32 v19, v19, v35, 0x41080000
	v_fmaak_f32 v21, v21, v35, 0x41080000
	v_fmaak_f32 v23, v23, v35, 0x41080000
	;; [unrolled: 1-line block ×14, first 2 shown]
	v_cvt_i32_f32_e32 v50, v10
	v_cvt_i32_f32_e32 v10, v18
	v_cvt_i32_f32_e32 v42, v11
	v_cvt_i32_f32_e32 v52, v12
	v_cvt_i32_f32_e32 v11, v20
	v_cvt_i32_f32_e32 v46, v13
	v_cvt_i32_f32_e32 v54, v14
	v_cvt_i32_f32_e32 v12, v22
	v_cvt_i32_f32_e32 v34, v15
	v_cvt_i32_f32_e32 v56, v16
	v_cvt_i32_f32_e32 v13, v24
	v_cvt_i32_f32_e32 v38, v17
	v_cvt_i32_f32_e32 v14, v26
	v_cvt_i32_f32_e32 v15, v28
	v_cvt_i32_f32_e32 v16, v30
	v_cvt_i32_f32_e32 v17, v32
	v_cvt_i32_f32_e32 v44, v19
	v_cvt_i32_f32_e32 v48, v21
	v_cvt_i32_f32_e32 v36, v23
	v_cvt_i32_f32_e32 v40, v25
	v_cvt_i32_f32_e32 v58, v5
	v_cvt_i32_f32_e32 v26, v6
	v_cvt_i32_f32_e32 v35, v27
	v_cvt_i32_f32_e32 v60, v7
	v_cvt_i32_f32_e32 v37, v8
	v_cvt_i32_f32_e32 v39, v29
	v_cvt_i32_f32_e32 v62, v1
	v_cvt_i32_f32_e32 v18, v2
	v_cvt_i32_f32_e32 v20, v31
	v_cvt_i32_f32_e32 v64, v3
	v_cvt_i32_f32_e32 v22, v4
	v_cvt_i32_f32_e32 v24, v33
	v_cvt_f64_i32_e32 v[1:2], v10
	v_cvt_f64_i32_e32 v[3:4], v11
	;; [unrolled: 1-line block ×32, first 2 shown]
	v_cndmask_b32_e32 v68, v66, v67, vcc_lo
	s_mov_b32 s0, 0xbe000000
	s_delay_alu instid0(SALU_CYCLE_1) | instskip(NEXT) | instid1(VALU_DEP_2)
	v_fma_mixlo_f16 v9, v9, s0, 0
	v_mad_u64_u32 v[66:67], null, v68, 18, s[2:3]
	v_min_f64 v[1:2], 0x402e0000, v[1:2]
	v_min_f64 v[3:4], 0x402e0000, v[3:4]
	;; [unrolled: 1-line block ×32, first 2 shown]
	v_mad_u64_u32 v[68:69], null, v70, 18, v[67:68]
	v_cvt_i32_f64_e32 v1, v[1:2]
	v_cvt_i32_f64_e32 v2, v[3:4]
	;; [unrolled: 1-line block ×32, first 2 shown]
	v_mov_b32_e32 v67, v68
	s_delay_alu instid0(VALU_DEP_1)
	v_mad_u64_u32 v[4:5], null, v0, 18, v[66:67]
	v_lshlrev_b16 v0, 4, v1
	v_lshlrev_b16 v1, 4, v2
	;; [unrolled: 1-line block ×24, first 2 shown]
	v_or_b32_e32 v0, v0, v28
	v_or_b32_e32 v1, v1, v29
	v_or_b32_e32 v2, v2, v30
	v_or_b32_e32 v3, v3, v31
	v_or_b32_e32 v6, v6, v32
	v_or_b32_e32 v7, v7, v33
	v_or_b32_e32 v8, v8, v34
	v_or_b32_e32 v10, v10, v35
	v_or_b32_e32 v11, v12, v11
	v_or_b32_e32 v12, v14, v13
	v_and_b32_e32 v7, 0xff, v7
	v_or_b32_e32 v13, v16, v15
	v_or_b32_e32 v14, v18, v17
	;; [unrolled: 1-line block ×6, first 2 shown]
	v_and_b32_e32 v8, 0xff, v8
	v_and_b32_e32 v10, 0xff, v10
	;; [unrolled: 1-line block ×7, first 2 shown]
	v_or_b32_e32 v8, v8, v11
	v_or_b32_e32 v10, v10, v12
	;; [unrolled: 1-line block ×8, first 2 shown]
	v_and_b32_e32 v8, 0xffff, v8
	v_lshlrev_b32_e32 v10, 16, v10
	v_and_b32_e32 v6, 0xffff, v6
	v_lshlrev_b32_e32 v7, 16, v7
	;; [unrolled: 2-line block ×4, first 2 shown]
	v_or_b32_e32 v3, v8, v10
	v_or_b32_e32 v2, v6, v7
	;; [unrolled: 1-line block ×3, first 2 shown]
	s_delay_alu instid0(VALU_DEP_4)
	v_or_b32_e32 v0, v0, v13
	s_clause 0x1
	global_store_b16 v[4:5], v9, off
	global_store_b128 v[4:5], v[0:3], off offset:2
.LBB3_2:
	s_nop 0
	s_sendmsg sendmsg(MSG_DEALLOC_VGPRS)
	s_endpgm
	.section	.rodata,"a",@progbits
	.p2align	6, 0x0
	.amdhsa_kernel _ZL16k_set_rows_quantIl10block_q4_0Li32ETnPFvPKfPT0_EXadL_ZL23quantize_f32_q4_0_blockS2_PS0_EEEvS2_PKT_S4_llllllllllllll15HIP_vector_typeIjLj3EESC_SC_SC_SC_
		.amdhsa_group_segment_fixed_size 0
		.amdhsa_private_segment_fixed_size 0
		.amdhsa_kernarg_size 456
		.amdhsa_user_sgpr_count 15
		.amdhsa_user_sgpr_dispatch_ptr 0
		.amdhsa_user_sgpr_queue_ptr 0
		.amdhsa_user_sgpr_kernarg_segment_ptr 1
		.amdhsa_user_sgpr_dispatch_id 0
		.amdhsa_user_sgpr_private_segment_size 0
		.amdhsa_wavefront_size32 1
		.amdhsa_uses_dynamic_stack 0
		.amdhsa_enable_private_segment 0
		.amdhsa_system_sgpr_workgroup_id_x 1
		.amdhsa_system_sgpr_workgroup_id_y 0
		.amdhsa_system_sgpr_workgroup_id_z 0
		.amdhsa_system_sgpr_workgroup_info 0
		.amdhsa_system_vgpr_workitem_id 0
		.amdhsa_next_free_vgpr 71
		.amdhsa_next_free_sgpr 32
		.amdhsa_reserve_vcc 1
		.amdhsa_float_round_mode_32 0
		.amdhsa_float_round_mode_16_64 0
		.amdhsa_float_denorm_mode_32 3
		.amdhsa_float_denorm_mode_16_64 3
		.amdhsa_dx10_clamp 1
		.amdhsa_ieee_mode 1
		.amdhsa_fp16_overflow 0
		.amdhsa_workgroup_processor_mode 1
		.amdhsa_memory_ordered 1
		.amdhsa_forward_progress 0
		.amdhsa_shared_vgpr_count 0
		.amdhsa_exception_fp_ieee_invalid_op 0
		.amdhsa_exception_fp_denorm_src 0
		.amdhsa_exception_fp_ieee_div_zero 0
		.amdhsa_exception_fp_ieee_overflow 0
		.amdhsa_exception_fp_ieee_underflow 0
		.amdhsa_exception_fp_ieee_inexact 0
		.amdhsa_exception_int_div_zero 0
	.end_amdhsa_kernel
	.section	.text._ZL16k_set_rows_quantIl10block_q4_0Li32ETnPFvPKfPT0_EXadL_ZL23quantize_f32_q4_0_blockS2_PS0_EEEvS2_PKT_S4_llllllllllllll15HIP_vector_typeIjLj3EESC_SC_SC_SC_,"axG",@progbits,_ZL16k_set_rows_quantIl10block_q4_0Li32ETnPFvPKfPT0_EXadL_ZL23quantize_f32_q4_0_blockS2_PS0_EEEvS2_PKT_S4_llllllllllllll15HIP_vector_typeIjLj3EESC_SC_SC_SC_,comdat
.Lfunc_end3:
	.size	_ZL16k_set_rows_quantIl10block_q4_0Li32ETnPFvPKfPT0_EXadL_ZL23quantize_f32_q4_0_blockS2_PS0_EEEvS2_PKT_S4_llllllllllllll15HIP_vector_typeIjLj3EESC_SC_SC_SC_, .Lfunc_end3-_ZL16k_set_rows_quantIl10block_q4_0Li32ETnPFvPKfPT0_EXadL_ZL23quantize_f32_q4_0_blockS2_PS0_EEEvS2_PKT_S4_llllllllllllll15HIP_vector_typeIjLj3EESC_SC_SC_SC_
                                        ; -- End function
	.section	.AMDGPU.csdata,"",@progbits
; Kernel info:
; codeLenInByte = 3660
; NumSgprs: 34
; NumVgprs: 71
; ScratchSize: 0
; MemoryBound: 0
; FloatMode: 240
; IeeeMode: 1
; LDSByteSize: 0 bytes/workgroup (compile time only)
; SGPRBlocks: 4
; VGPRBlocks: 8
; NumSGPRsForWavesPerEU: 34
; NumVGPRsForWavesPerEU: 71
; Occupancy: 16
; WaveLimiterHint : 1
; COMPUTE_PGM_RSRC2:SCRATCH_EN: 0
; COMPUTE_PGM_RSRC2:USER_SGPR: 15
; COMPUTE_PGM_RSRC2:TRAP_HANDLER: 0
; COMPUTE_PGM_RSRC2:TGID_X_EN: 1
; COMPUTE_PGM_RSRC2:TGID_Y_EN: 0
; COMPUTE_PGM_RSRC2:TGID_Z_EN: 0
; COMPUTE_PGM_RSRC2:TIDIG_COMP_CNT: 0
	.section	.text._ZL16k_set_rows_quantIl10block_q4_1Li32ETnPFvPKfPT0_EXadL_ZL23quantize_f32_q4_1_blockS2_PS0_EEEvS2_PKT_S4_llllllllllllll15HIP_vector_typeIjLj3EESC_SC_SC_SC_,"axG",@progbits,_ZL16k_set_rows_quantIl10block_q4_1Li32ETnPFvPKfPT0_EXadL_ZL23quantize_f32_q4_1_blockS2_PS0_EEEvS2_PKT_S4_llllllllllllll15HIP_vector_typeIjLj3EESC_SC_SC_SC_,comdat
	.globl	_ZL16k_set_rows_quantIl10block_q4_1Li32ETnPFvPKfPT0_EXadL_ZL23quantize_f32_q4_1_blockS2_PS0_EEEvS2_PKT_S4_llllllllllllll15HIP_vector_typeIjLj3EESC_SC_SC_SC_ ; -- Begin function _ZL16k_set_rows_quantIl10block_q4_1Li32ETnPFvPKfPT0_EXadL_ZL23quantize_f32_q4_1_blockS2_PS0_EEEvS2_PKT_S4_llllllllllllll15HIP_vector_typeIjLj3EESC_SC_SC_SC_
	.p2align	8
	.type	_ZL16k_set_rows_quantIl10block_q4_1Li32ETnPFvPKfPT0_EXadL_ZL23quantize_f32_q4_1_blockS2_PS0_EEEvS2_PKT_S4_llllllllllllll15HIP_vector_typeIjLj3EESC_SC_SC_SC_,@function
_ZL16k_set_rows_quantIl10block_q4_1Li32ETnPFvPKfPT0_EXadL_ZL23quantize_f32_q4_1_blockS2_PS0_EEEvS2_PKT_S4_llllllllllllll15HIP_vector_typeIjLj3EESC_SC_SC_SC_: ; @_ZL16k_set_rows_quantIl10block_q4_1Li32ETnPFvPKfPT0_EXadL_ZL23quantize_f32_q4_1_blockS2_PS0_EEEvS2_PKT_S4_llllllllllllll15HIP_vector_typeIjLj3EESC_SC_SC_SC_
; %bb.0:
	s_clause 0x1
	s_load_b32 s4, s[0:1], 0xd4
	s_load_b64 s[2:3], s[0:1], 0x18
	v_mov_b32_e32 v1, 0
	s_waitcnt lgkmcnt(0)
	s_and_b32 s4, s4, 0xffff
	s_delay_alu instid0(VALU_DEP_1) | instid1(SALU_CYCLE_1)
	v_mad_u64_u32 v[2:3], null, s4, s15, v[0:1]
	s_delay_alu instid0(VALU_DEP_1)
	v_cmp_gt_i64_e32 vcc_lo, s[2:3], v[2:3]
	s_and_saveexec_b32 s2, vcc_lo
	s_cbranch_execz .LBB4_2
; %bb.1:
	s_load_b256 s[20:27], s[0:1], 0x88
	v_lshlrev_b32_e32 v12, 5, v2
	s_clause 0x2
	s_load_b128 s[28:31], s[0:1], 0xa8
	s_load_b512 s[4:19], s[0:1], 0x40
	s_load_b64 s[2:3], s[0:1], 0x10
	s_waitcnt lgkmcnt(0)
	v_mul_hi_u32 v0, s20, v12
	s_delay_alu instid0(VALU_DEP_1) | instskip(NEXT) | instid1(VALU_DEP_1)
	v_add_nc_u32_e32 v0, v12, v0
	v_lshrrev_b32_e32 v11, s21, v0
	s_delay_alu instid0(VALU_DEP_1) | instskip(NEXT) | instid1(VALU_DEP_1)
	v_mul_hi_u32 v0, v11, s23
	v_add_nc_u32_e32 v0, v11, v0
	s_delay_alu instid0(VALU_DEP_1) | instskip(NEXT) | instid1(VALU_DEP_1)
	v_lshrrev_b32_e32 v0, s24, v0
	v_mul_hi_u32 v2, v0, s26
	s_delay_alu instid0(VALU_DEP_1) | instskip(NEXT) | instid1(VALU_DEP_1)
	v_add_nc_u32_e32 v2, v0, v2
	v_lshrrev_b32_e32 v26, s27, v2
	v_mul_lo_u32 v2, v0, s25
	s_load_b128 s[24:27], s[0:1], 0x0
	s_delay_alu instid0(VALU_DEP_2) | instskip(SKIP_1) | instid1(VALU_DEP_3)
	v_mul_lo_u32 v3, v26, s28
	v_mad_u64_u32 v[6:7], null, v26, s8, 0
	v_sub_nc_u32_e32 v19, v11, v2
	s_delay_alu instid0(VALU_DEP_3) | instskip(NEXT) | instid1(VALU_DEP_2)
	v_sub_nc_u32_e32 v25, v0, v3
	v_mad_u64_u32 v[2:3], null, v19, s4, 0
	s_delay_alu instid0(VALU_DEP_2) | instskip(SKIP_1) | instid1(VALU_DEP_1)
	v_mad_u64_u32 v[4:5], null, v25, s6, 0
	s_load_b32 s6, s[0:1], 0xc0
	v_dual_mov_b32 v0, v3 :: v_dual_mov_b32 v3, v5
	s_delay_alu instid0(VALU_DEP_1) | instskip(SKIP_2) | instid1(VALU_DEP_4)
	v_mad_u64_u32 v[8:9], null, v19, s5, v[0:1]
	v_mov_b32_e32 v0, v7
	v_mul_lo_u32 v7, v11, s22
	v_mad_u64_u32 v[9:10], null, v25, s7, v[3:4]
	s_load_b64 s[4:5], s[0:1], 0xb8
	s_delay_alu instid0(VALU_DEP_3) | instskip(SKIP_2) | instid1(VALU_DEP_4)
	v_mad_u64_u32 v[10:11], null, v26, s9, v[0:1]
	v_mov_b32_e32 v3, v8
	s_load_b64 s[0:1], s[0:1], 0x80
	v_sub_nc_u32_e32 v0, v12, v7
	s_delay_alu instid0(VALU_DEP_4) | instskip(NEXT) | instid1(VALU_DEP_3)
	v_mov_b32_e32 v5, v9
	v_lshlrev_b64 v[2:3], 2, v[2:3]
	v_mov_b32_e32 v7, v10
	s_delay_alu instid0(VALU_DEP_3) | instskip(SKIP_1) | instid1(VALU_DEP_3)
	v_lshlrev_b64 v[4:5], 2, v[4:5]
	s_waitcnt lgkmcnt(0)
	v_add_co_u32 v8, vcc_lo, s24, v2
	s_delay_alu instid0(VALU_DEP_4) | instskip(SKIP_1) | instid1(VALU_DEP_3)
	v_add_co_ci_u32_e32 v9, vcc_lo, s25, v3, vcc_lo
	v_lshlrev_b64 v[2:3], 2, v[6:7]
	v_add_co_u32 v6, vcc_lo, v8, v4
	s_delay_alu instid0(VALU_DEP_3) | instskip(SKIP_1) | instid1(VALU_DEP_3)
	v_add_co_ci_u32_e32 v7, vcc_lo, v9, v5, vcc_lo
	v_lshlrev_b64 v[4:5], 2, v[0:1]
	v_add_co_u32 v1, vcc_lo, v6, v2
	s_delay_alu instid0(VALU_DEP_3) | instskip(SKIP_1) | instid1(VALU_DEP_3)
	v_add_co_ci_u32_e32 v2, vcc_lo, v7, v3, vcc_lo
	v_lshrrev_b32_e32 v0, 5, v0
	v_add_co_u32 v9, vcc_lo, v1, v4
	s_delay_alu instid0(VALU_DEP_3)
	v_add_co_ci_u32_e32 v10, vcc_lo, v2, v5, vcc_lo
	v_mul_hi_u32 v1, v25, s29
	v_mul_hi_u32 v2, v26, s4
	s_add_u32 s4, 0, 0xcccc3000
	s_clause 0x2
	global_load_b128 v[21:24], v[9:10], off
	global_load_b128 v[13:16], v[9:10], off offset:16
	global_load_b128 v[5:8], v[9:10], off offset:32
	s_mul_hi_u32 s7, s4, 0xffffffec
	v_add_nc_u32_e32 v1, v25, v1
	s_delay_alu instid0(VALU_DEP_1) | instskip(NEXT) | instid1(VALU_DEP_1)
	v_lshrrev_b32_e32 v1, s30, v1
	v_mul_lo_u32 v3, v1, s31
	s_delay_alu instid0(VALU_DEP_1) | instskip(NEXT) | instid1(VALU_DEP_1)
	v_sub_nc_u32_e32 v20, v25, v3
	v_mad_u64_u32 v[11:12], null, v20, s12, 0
	s_waitcnt vmcnt(2)
	v_dual_max_f32 v37, v21, v21 :: v_dual_add_nc_u32 v2, v26, v2
	s_delay_alu instid0(VALU_DEP_1) | instskip(SKIP_1) | instid1(VALU_DEP_3)
	v_min_f32_e32 v38, 0x7f7fffff, v37
	v_max_f32_e32 v37, 0xff7fffff, v37
	v_lshrrev_b32_e32 v2, s5, v2
	s_addc_u32 s5, 0, 44
	s_sub_i32 s7, s7, s4
	s_add_i32 s5, s5, 0xccccca0
	s_delay_alu instid0(VALU_DEP_1)
	v_mul_lo_u32 v4, v2, s6
	v_mad_u64_u32 v[1:2], null, v19, s10, 0
	s_mul_i32 s9, s5, 0xffffffec
	s_mul_i32 s6, s4, 0xffffffec
	s_add_i32 s7, s7, s9
	s_mul_hi_u32 s8, s4, s6
	s_mul_hi_u32 s9, s4, s7
	s_delay_alu instid0(VALU_DEP_2) | instskip(NEXT) | instid1(VALU_DEP_2)
	v_sub_nc_u32_e32 v27, v26, v4
	v_mad_u64_u32 v[3:4], null, v19, s11, v[2:3]
	v_mov_b32_e32 v2, v12
	s_mul_i32 s11, s4, s7
	s_delay_alu instid0(VALU_DEP_3)
	v_mad_u64_u32 v[17:18], null, v27, s14, 0
	s_mul_hi_u32 s10, s5, s6
	s_mul_i32 s6, s5, s6
	s_add_u32 s8, s8, s11
	s_addc_u32 s9, 0, s9
	s_mul_hi_u32 s12, s5, s7
	s_mul_i32 s7, s5, s7
	s_delay_alu instid0(VALU_DEP_1) | instskip(SKIP_3) | instid1(VALU_DEP_3)
	v_mov_b32_e32 v4, v18
	v_mad_u64_u32 v[18:19], null, v20, s13, v[2:3]
	v_mov_b32_e32 v2, v3
	s_waitcnt vmcnt(0)
	v_mad_u64_u32 v[19:20], null, v27, s15, v[4:5]
	s_delay_alu instid0(VALU_DEP_2) | instskip(SKIP_4) | instid1(VALU_DEP_3)
	v_lshlrev_b64 v[27:28], 3, v[1:2]
	global_load_b128 v[1:4], v[9:10], off offset:48
	v_mov_b32_e32 v12, v18
	v_mov_b32_e32 v18, v19
	v_add_co_u32 v19, vcc_lo, s26, v27
	v_lshlrev_b64 v[11:12], 3, v[11:12]
	v_add_co_ci_u32_e32 v20, vcc_lo, s27, v28, vcc_lo
	s_delay_alu instid0(VALU_DEP_4) | instskip(NEXT) | instid1(VALU_DEP_3)
	v_lshlrev_b64 v[17:18], 3, v[17:18]
	v_add_co_u32 v11, vcc_lo, v19, v11
	s_delay_alu instid0(VALU_DEP_3) | instskip(NEXT) | instid1(VALU_DEP_2)
	v_add_co_ci_u32_e32 v12, vcc_lo, v20, v12, vcc_lo
	v_add_co_u32 v11, vcc_lo, v11, v17
	s_delay_alu instid0(VALU_DEP_2)
	v_add_co_ci_u32_e32 v12, vcc_lo, v12, v18, vcc_lo
	global_load_b64 v[27:28], v[11:12], off
	s_clause 0x3
	global_load_b128 v[29:32], v[9:10], off offset:64
	global_load_b128 v[33:36], v[9:10], off offset:80
	;; [unrolled: 1-line block ×4, first 2 shown]
	v_cmp_lt_f32_e32 vcc_lo, v22, v38
	v_cndmask_b32_e32 v38, v38, v22, vcc_lo
	v_cmp_gt_f32_e32 vcc_lo, v22, v37
	v_cndmask_b32_e32 v37, v37, v22, vcc_lo
	s_delay_alu instid0(VALU_DEP_3) | instskip(SKIP_1) | instid1(VALU_DEP_3)
	v_cmp_lt_f32_e32 vcc_lo, v23, v38
	v_cndmask_b32_e32 v38, v38, v23, vcc_lo
	v_cmp_gt_f32_e32 vcc_lo, v23, v37
	v_cndmask_b32_e32 v37, v37, v23, vcc_lo
	s_delay_alu instid0(VALU_DEP_3) | instskip(SKIP_1) | instid1(VALU_DEP_3)
	;; [unrolled: 5-line block ×10, first 2 shown]
	v_cmp_lt_f32_e32 vcc_lo, v8, v38
	v_cndmask_b32_e32 v38, v38, v8, vcc_lo
	v_cmp_gt_f32_e32 vcc_lo, v8, v37
	v_cndmask_b32_e32 v37, v37, v8, vcc_lo
	s_waitcnt vmcnt(5)
	s_delay_alu instid0(VALU_DEP_3) | instskip(SKIP_1) | instid1(VALU_DEP_3)
	v_cmp_lt_f32_e32 vcc_lo, v1, v38
	v_cndmask_b32_e32 v38, v38, v1, vcc_lo
	v_cmp_gt_f32_e32 vcc_lo, v1, v37
	v_cndmask_b32_e32 v37, v37, v1, vcc_lo
	s_delay_alu instid0(VALU_DEP_3) | instskip(SKIP_1) | instid1(VALU_DEP_3)
	v_cmp_lt_f32_e32 vcc_lo, v2, v38
	v_cndmask_b32_e32 v38, v38, v2, vcc_lo
	v_cmp_gt_f32_e32 vcc_lo, v2, v37
	s_waitcnt vmcnt(4)
	v_mul_lo_u32 v39, v27, s17
	v_mul_lo_u32 v28, v28, s16
	v_cndmask_b32_e32 v37, v37, v2, vcc_lo
	v_cmp_lt_f32_e32 vcc_lo, v3, v38
	v_cndmask_b32_e32 v38, v38, v3, vcc_lo
	s_delay_alu instid0(VALU_DEP_3) | instskip(SKIP_1) | instid1(VALU_DEP_3)
	v_cmp_gt_f32_e32 vcc_lo, v3, v37
	v_cndmask_b32_e32 v37, v37, v3, vcc_lo
	v_cmp_lt_f32_e32 vcc_lo, v4, v38
	v_cndmask_b32_e32 v40, v38, v4, vcc_lo
	s_delay_alu instid0(VALU_DEP_3) | instskip(SKIP_2) | instid1(VALU_DEP_3)
	v_cmp_gt_f32_e32 vcc_lo, v4, v37
	v_cndmask_b32_e32 v41, v37, v4, vcc_lo
	s_waitcnt vmcnt(3)
	v_cmp_lt_f32_e32 vcc_lo, v29, v40
	v_mad_u64_u32 v[37:38], null, v27, s16, 0
	v_cndmask_b32_e32 v27, v40, v29, vcc_lo
	v_cmp_gt_f32_e32 vcc_lo, v29, v41
	s_delay_alu instid0(VALU_DEP_3) | instskip(SKIP_1) | instid1(VALU_DEP_4)
	v_add3_u32 v38, v38, v39, v28
	v_cndmask_b32_e32 v40, v41, v29, vcc_lo
	v_cmp_lt_f32_e32 vcc_lo, v30, v27
	v_cndmask_b32_e32 v27, v27, v30, vcc_lo
	s_delay_alu instid0(VALU_DEP_3) | instskip(SKIP_1) | instid1(VALU_DEP_3)
	v_cmp_gt_f32_e32 vcc_lo, v30, v40
	v_cndmask_b32_e32 v40, v40, v30, vcc_lo
	v_cmp_lt_f32_e32 vcc_lo, v31, v27
	v_cndmask_b32_e32 v39, v27, v31, vcc_lo
	s_delay_alu instid0(VALU_DEP_3)
	v_cmp_gt_f32_e32 vcc_lo, v31, v40
	v_mad_u64_u32 v[27:28], null, v26, s0, v[37:38]
	s_add_u32 s0, s8, s6
	s_addc_u32 s0, s9, s10
	v_cndmask_b32_e32 v40, v40, v31, vcc_lo
	v_cmp_lt_f32_e32 vcc_lo, v32, v39
	s_addc_u32 s6, s12, 0
	s_add_u32 s0, s0, s7
	v_cndmask_b32_e32 v37, v39, v32, vcc_lo
	v_cmp_gt_f32_e32 vcc_lo, v32, v40
	v_cndmask_b32_e32 v38, v40, v32, vcc_lo
	s_waitcnt vmcnt(2)
	s_delay_alu instid0(VALU_DEP_3) | instskip(SKIP_1) | instid1(VALU_DEP_3)
	v_cmp_lt_f32_e32 vcc_lo, v33, v37
	v_cndmask_b32_e32 v37, v37, v33, vcc_lo
	v_cmp_gt_f32_e32 vcc_lo, v33, v38
	v_cndmask_b32_e32 v38, v38, v33, vcc_lo
	s_delay_alu instid0(VALU_DEP_3) | instskip(SKIP_1) | instid1(VALU_DEP_3)
	v_cmp_lt_f32_e32 vcc_lo, v34, v37
	v_cndmask_b32_e32 v39, v37, v34, vcc_lo
	v_cmp_gt_f32_e32 vcc_lo, v34, v38
	v_cndmask_b32_e32 v40, v38, v34, vcc_lo
	s_delay_alu instid0(VALU_DEP_3) | instskip(SKIP_4) | instid1(VALU_DEP_3)
	v_cmp_lt_f32_e32 vcc_lo, v35, v39
	v_mad_u64_u32 v[37:38], null, v26, s1, v[28:29]
	s_addc_u32 s1, 0, s6
	v_cndmask_b32_e32 v26, v39, v35, vcc_lo
	v_cmp_gt_f32_e32 vcc_lo, v35, v40
	v_mov_b32_e32 v28, v37
	v_cndmask_b32_e32 v38, v40, v35, vcc_lo
	s_delay_alu instid0(VALU_DEP_4) | instskip(SKIP_1) | instid1(VALU_DEP_1)
	v_cmp_lt_f32_e32 vcc_lo, v36, v26
	v_add_co_u32 v40, s0, s4, s0
	s_cmp_lg_u32 s0, 0
	v_cndmask_b32_e32 v26, v26, v36, vcc_lo
	v_cmp_gt_f32_e32 vcc_lo, v36, v38
	s_addc_u32 s0, s5, s1
	v_cndmask_b32_e32 v39, v38, v36, vcc_lo
	s_waitcnt vmcnt(1)
	v_cmp_lt_f32_e32 vcc_lo, v17, v26
	v_mad_u64_u32 v[37:38], null, v25, s18, v[27:28]
	v_cndmask_b32_e32 v26, v26, v17, vcc_lo
	v_cmp_gt_f32_e32 vcc_lo, v17, v39
	s_delay_alu instid0(VALU_DEP_3) | instskip(SKIP_1) | instid1(VALU_DEP_4)
	v_mul_hi_u32 v41, v37, v40
	v_cndmask_b32_e32 v27, v39, v17, vcc_lo
	v_cmp_lt_f32_e32 vcc_lo, v18, v26
	v_cndmask_b32_e32 v28, v26, v18, vcc_lo
	s_delay_alu instid0(VALU_DEP_3) | instskip(SKIP_1) | instid1(VALU_DEP_3)
	v_cmp_gt_f32_e32 vcc_lo, v18, v27
	v_dual_mov_b32 v26, v38 :: v_dual_cndmask_b32 v27, v27, v18
	v_cmp_lt_f32_e32 vcc_lo, v19, v28
	v_cndmask_b32_e32 v38, v28, v19, vcc_lo
	s_delay_alu instid0(VALU_DEP_3) | instskip(SKIP_1) | instid1(VALU_DEP_3)
	v_cmp_gt_f32_e32 vcc_lo, v19, v27
	v_cndmask_b32_e32 v39, v27, v19, vcc_lo
	v_cmp_lt_f32_e32 vcc_lo, v20, v38
	v_mad_u64_u32 v[27:28], null, v37, s0, 0
	v_cndmask_b32_e32 v42, v38, v20, vcc_lo
	s_delay_alu instid0(VALU_DEP_4) | instskip(SKIP_2) | instid1(VALU_DEP_3)
	v_cmp_gt_f32_e32 vcc_lo, v20, v39
	v_cndmask_b32_e32 v43, v39, v20, vcc_lo
	s_waitcnt vmcnt(0)
	v_cmp_lt_f32_e32 vcc_lo, v9, v42
	v_mad_u64_u32 v[38:39], null, v25, s19, v[26:27]
	v_cndmask_b32_e32 v25, v42, v9, vcc_lo
	v_cmp_gt_f32_e32 vcc_lo, v9, v43
	v_cndmask_b32_e32 v26, v43, v9, vcc_lo
	v_add_co_u32 v41, vcc_lo, v41, v27
	v_add_co_ci_u32_e32 v28, vcc_lo, 0, v28, vcc_lo
	v_cmp_lt_f32_e32 vcc_lo, v10, v25
	v_cndmask_b32_e32 v27, v25, v10, vcc_lo
	v_cmp_gt_f32_e32 vcc_lo, v10, v26
	v_cndmask_b32_e32 v39, v26, v10, vcc_lo
	s_delay_alu instid0(VALU_DEP_3) | instskip(SKIP_2) | instid1(VALU_DEP_4)
	v_cmp_lt_f32_e32 vcc_lo, v11, v27
	v_mad_u64_u32 v[25:26], null, v38, v40, 0
	v_cndmask_b32_e32 v27, v27, v11, vcc_lo
	v_cmp_gt_f32_e32 vcc_lo, v11, v39
	v_cndmask_b32_e32 v42, v39, v11, vcc_lo
	s_delay_alu instid0(VALU_DEP_3) | instskip(SKIP_2) | instid1(VALU_DEP_4)
	v_cmp_lt_f32_e32 vcc_lo, v12, v27
	v_mad_u64_u32 v[39:40], null, v38, s0, 0
	v_cndmask_b32_e32 v27, v27, v12, vcc_lo
	v_cmp_gt_f32_e32 vcc_lo, v12, v42
	s_delay_alu instid0(VALU_DEP_2) | instskip(SKIP_2) | instid1(VALU_DEP_3)
	v_dual_sub_f32 v29, v29, v27 :: v_dual_cndmask_b32 v42, v42, v12
	v_add_co_u32 v25, vcc_lo, v41, v25
	v_add_co_ci_u32_e32 v25, vcc_lo, v28, v26, vcc_lo
	v_sub_f32_e32 v28, v42, v27
	v_add_co_ci_u32_e32 v26, vcc_lo, 0, v40, vcc_lo
	s_delay_alu instid0(VALU_DEP_3) | instskip(NEXT) | instid1(VALU_DEP_3)
	v_add_co_u32 v41, vcc_lo, v25, v39
	v_div_scale_f32 v42, null, 0x41700000, 0x41700000, v28
	s_delay_alu instid0(VALU_DEP_3) | instskip(NEXT) | instid1(VALU_DEP_3)
	v_add_co_ci_u32_e32 v43, vcc_lo, 0, v26, vcc_lo
	v_mad_u64_u32 v[25:26], null, v41, 20, 0
	s_delay_alu instid0(VALU_DEP_3)
	v_rcp_f32_e32 v44, v42
	v_sub_f32_e32 v23, v23, v27
	v_sub_f32_e32 v21, v21, v27
	v_sub_f32_e32 v22, v22, v27
	v_sub_f32_e32 v13, v13, v27
	v_sub_f32_e32 v33, v33, v27
	v_mad_u64_u32 v[39:40], null, v43, 20, v[26:27]
	v_div_scale_f32 v26, vcc_lo, v28, 0x41700000, v28
	s_delay_alu instid0(TRANS32_DEP_1) | instskip(SKIP_3) | instid1(VALU_DEP_4)
	v_fma_f32 v45, -v42, v44, 1.0
	v_sub_co_u32 v25, s0, v37, v25
	v_sub_f32_e32 v14, v14, v27
	v_sub_co_ci_u32_e64 v38, s0, v38, v39, s0
	v_fmac_f32_e32 v44, v45, v44
	s_delay_alu instid0(VALU_DEP_4) | instskip(NEXT) | instid1(VALU_DEP_1)
	v_sub_co_u32 v39, s0, v25, 20
	v_subrev_co_ci_u32_e64 v47, s0, 0, v38, s0
	s_delay_alu instid0(VALU_DEP_3) | instskip(NEXT) | instid1(VALU_DEP_3)
	v_mul_f32_e32 v37, v26, v44
	v_cmp_lt_u32_e64 s0, 19, v39
	v_add_co_u32 v45, s1, v41, 2
	s_delay_alu instid0(VALU_DEP_1) | instskip(NEXT) | instid1(VALU_DEP_4)
	v_add_co_ci_u32_e64 v46, s1, 0, v43, s1
	v_fma_f32 v40, -v42, v37, v26
	s_delay_alu instid0(VALU_DEP_4)
	v_cndmask_b32_e64 v39, 0, -1, s0
	v_cmp_lt_u32_e64 s0, 19, v25
	v_sub_f32_e32 v15, v15, v27
	v_sub_f32_e32 v35, v35, v27
	v_fmac_f32_e32 v37, v40, v44
	v_sub_f32_e32 v16, v16, v27
	v_cndmask_b32_e64 v25, 0, -1, s0
	v_cmp_eq_u32_e64 s0, 0, v47
	v_sub_f32_e32 v17, v17, v27
	v_fma_f32 v26, -v42, v37, v26
	v_sub_f32_e32 v19, v19, v27
	v_sub_f32_e32 v20, v20, v27
	v_cndmask_b32_e64 v39, -1, v39, s0
	v_cmp_eq_u32_e64 s0, 0, v38
	v_div_fmas_f32 v26, v26, v44, v37
	v_add_co_u32 v37, vcc_lo, v41, 1
	v_add_co_ci_u32_e32 v40, vcc_lo, 0, v43, vcc_lo
	s_delay_alu instid0(VALU_DEP_3)
	v_div_fixup_f32 v28, v26, 0x41700000, v28
	v_cmp_ne_u32_e32 vcc_lo, 0, v39
	v_cndmask_b32_e64 v25, -1, v25, s0
	v_sub_f32_e32 v9, v9, v27
	v_sub_f32_e32 v11, v11, v27
	v_div_scale_f32 v38, null, v28, v28, 1.0
	v_dual_cndmask_b32 v37, v37, v45 :: v_dual_sub_f32 v30, v30, v27
	v_sub_f32_e32 v24, v24, v27
	s_delay_alu instid0(VALU_DEP_3)
	v_rcp_f32_e32 v39, v38
	v_cndmask_b32_e32 v26, v40, v46, vcc_lo
	v_cmp_ne_u32_e32 vcc_lo, 0, v25
	v_sub_f32_e32 v32, v32, v27
	v_sub_f32_e32 v34, v34, v27
	;; [unrolled: 1-line block ×4, first 2 shown]
	v_cndmask_b32_e32 v37, v41, v37, vcc_lo
	v_cndmask_b32_e32 v71, v43, v26, vcc_lo
	v_div_scale_f32 v40, vcc_lo, 1.0, v28, 1.0
	v_sub_f32_e32 v6, v6, v27
	s_delay_alu instid0(VALU_DEP_4)
	v_mad_u64_u32 v[25:26], null, v37, 20, s[2:3]
	v_fma_f32 v37, -v38, v39, 1.0
	v_sub_f32_e32 v18, v18, v27
	v_sub_f32_e32 v7, v7, v27
	;; [unrolled: 1-line block ×4, first 2 shown]
	v_fmac_f32_e32 v39, v37, v39
	v_mad_u64_u32 v[69:70], null, v71, 20, v[26:27]
	v_sub_f32_e32 v31, v31, v27
	v_sub_f32_e32 v2, v2, v27
	s_delay_alu instid0(VALU_DEP_4)
	v_mul_f32_e32 v37, v40, v39
	v_sub_f32_e32 v10, v10, v27
	v_sub_f32_e32 v3, v3, v27
	;; [unrolled: 1-line block ×4, first 2 shown]
	v_fma_f32 v41, -v38, v37, v40
	v_mov_b32_e32 v26, v69
	v_cvt_f16_f32_e32 v27, v27
	s_delay_alu instid0(VALU_DEP_3) | instskip(NEXT) | instid1(VALU_DEP_1)
	v_fmac_f32_e32 v37, v41, v39
	v_fma_f32 v38, -v38, v37, v40
	s_delay_alu instid0(VALU_DEP_1) | instskip(SKIP_1) | instid1(VALU_DEP_2)
	v_div_fmas_f32 v37, v38, v39, v37
	v_cmp_neq_f32_e32 vcc_lo, 0, v28
	v_div_fixup_f32 v37, v37, v28, 1.0
	s_delay_alu instid0(VALU_DEP_1) | instskip(NEXT) | instid1(VALU_DEP_1)
	v_cndmask_b32_e32 v37, 0, v37, vcc_lo
	v_fma_f32 v21, v21, v37, 0.5
	v_fma_f32 v29, v29, v37, 0.5
	;; [unrolled: 1-line block ×32, first 2 shown]
	v_cvt_i32_f32_e32 v53, v21
	v_cvt_i32_f32_e32 v21, v29
	;; [unrolled: 1-line block ×32, first 2 shown]
	v_cvt_f64_i32_e32 v[1:2], v21
	v_cvt_f64_i32_e32 v[3:4], v22
	;; [unrolled: 1-line block ×32, first 2 shown]
	v_min_f64 v[1:2], 0x402e0000, v[1:2]
	v_min_f64 v[3:4], 0x402e0000, v[3:4]
	;; [unrolled: 1-line block ×32, first 2 shown]
	v_cvt_i32_f64_e32 v1, v[1:2]
	v_cvt_i32_f64_e32 v2, v[3:4]
	;; [unrolled: 1-line block ×32, first 2 shown]
	v_mad_u64_u32 v[4:5], null, v0, 20, v[25:26]
	v_cvt_f16_f32_e32 v0, v28
	v_lshlrev_b16 v1, 4, v1
	v_lshlrev_b16 v2, 4, v2
	;; [unrolled: 1-line block ×24, first 2 shown]
	v_or_b32_e32 v1, v1, v31
	v_or_b32_e32 v2, v2, v32
	;; [unrolled: 1-line block ×16, first 2 shown]
	v_and_b32_e32 v9, 0xff, v9
	v_and_b32_e32 v10, 0xff, v10
	;; [unrolled: 1-line block ×8, first 2 shown]
	v_or_b32_e32 v9, v9, v11
	v_or_b32_e32 v10, v10, v12
	;; [unrolled: 1-line block ×8, first 2 shown]
	v_lshlrev_b32_e32 v8, 16, v8
	v_and_b32_e32 v9, 0xffff, v9
	v_lshlrev_b32_e32 v10, 16, v10
	v_and_b32_e32 v7, 0xffff, v7
	v_and_b32_e32 v11, 0xffff, v3
	v_lshlrev_b32_e32 v6, 16, v6
	v_and_b32_e32 v12, 0xffff, v1
	v_lshlrev_b32_e32 v13, 16, v2
	v_pack_b32_f16 v14, v0, v27
	v_or_b32_e32 v3, v9, v10
	v_or_b32_e32 v2, v7, v8
	v_or_b32_e32 v1, v11, v6
	v_or_b32_e32 v0, v12, v13
	s_clause 0x1
	global_store_b32 v[4:5], v14, off
	global_store_b128 v[4:5], v[0:3], off offset:4
.LBB4_2:
	s_nop 0
	s_sendmsg sendmsg(MSG_DEALLOC_VGPRS)
	s_endpgm
	.section	.rodata,"a",@progbits
	.p2align	6, 0x0
	.amdhsa_kernel _ZL16k_set_rows_quantIl10block_q4_1Li32ETnPFvPKfPT0_EXadL_ZL23quantize_f32_q4_1_blockS2_PS0_EEEvS2_PKT_S4_llllllllllllll15HIP_vector_typeIjLj3EESC_SC_SC_SC_
		.amdhsa_group_segment_fixed_size 0
		.amdhsa_private_segment_fixed_size 0
		.amdhsa_kernarg_size 456
		.amdhsa_user_sgpr_count 15
		.amdhsa_user_sgpr_dispatch_ptr 0
		.amdhsa_user_sgpr_queue_ptr 0
		.amdhsa_user_sgpr_kernarg_segment_ptr 1
		.amdhsa_user_sgpr_dispatch_id 0
		.amdhsa_user_sgpr_private_segment_size 0
		.amdhsa_wavefront_size32 1
		.amdhsa_uses_dynamic_stack 0
		.amdhsa_enable_private_segment 0
		.amdhsa_system_sgpr_workgroup_id_x 1
		.amdhsa_system_sgpr_workgroup_id_y 0
		.amdhsa_system_sgpr_workgroup_id_z 0
		.amdhsa_system_sgpr_workgroup_info 0
		.amdhsa_system_vgpr_workitem_id 0
		.amdhsa_next_free_vgpr 72
		.amdhsa_next_free_sgpr 32
		.amdhsa_reserve_vcc 1
		.amdhsa_float_round_mode_32 0
		.amdhsa_float_round_mode_16_64 0
		.amdhsa_float_denorm_mode_32 3
		.amdhsa_float_denorm_mode_16_64 3
		.amdhsa_dx10_clamp 1
		.amdhsa_ieee_mode 1
		.amdhsa_fp16_overflow 0
		.amdhsa_workgroup_processor_mode 1
		.amdhsa_memory_ordered 1
		.amdhsa_forward_progress 0
		.amdhsa_shared_vgpr_count 0
		.amdhsa_exception_fp_ieee_invalid_op 0
		.amdhsa_exception_fp_denorm_src 0
		.amdhsa_exception_fp_ieee_div_zero 0
		.amdhsa_exception_fp_ieee_overflow 0
		.amdhsa_exception_fp_ieee_underflow 0
		.amdhsa_exception_fp_ieee_inexact 0
		.amdhsa_exception_int_div_zero 0
	.end_amdhsa_kernel
	.section	.text._ZL16k_set_rows_quantIl10block_q4_1Li32ETnPFvPKfPT0_EXadL_ZL23quantize_f32_q4_1_blockS2_PS0_EEEvS2_PKT_S4_llllllllllllll15HIP_vector_typeIjLj3EESC_SC_SC_SC_,"axG",@progbits,_ZL16k_set_rows_quantIl10block_q4_1Li32ETnPFvPKfPT0_EXadL_ZL23quantize_f32_q4_1_blockS2_PS0_EEEvS2_PKT_S4_llllllllllllll15HIP_vector_typeIjLj3EESC_SC_SC_SC_,comdat
.Lfunc_end4:
	.size	_ZL16k_set_rows_quantIl10block_q4_1Li32ETnPFvPKfPT0_EXadL_ZL23quantize_f32_q4_1_blockS2_PS0_EEEvS2_PKT_S4_llllllllllllll15HIP_vector_typeIjLj3EESC_SC_SC_SC_, .Lfunc_end4-_ZL16k_set_rows_quantIl10block_q4_1Li32ETnPFvPKfPT0_EXadL_ZL23quantize_f32_q4_1_blockS2_PS0_EEEvS2_PKT_S4_llllllllllllll15HIP_vector_typeIjLj3EESC_SC_SC_SC_
                                        ; -- End function
	.section	.AMDGPU.csdata,"",@progbits
; Kernel info:
; codeLenInByte = 3716
; NumSgprs: 34
; NumVgprs: 72
; ScratchSize: 0
; MemoryBound: 0
; FloatMode: 240
; IeeeMode: 1
; LDSByteSize: 0 bytes/workgroup (compile time only)
; SGPRBlocks: 4
; VGPRBlocks: 8
; NumSGPRsForWavesPerEU: 34
; NumVGPRsForWavesPerEU: 72
; Occupancy: 16
; WaveLimiterHint : 1
; COMPUTE_PGM_RSRC2:SCRATCH_EN: 0
; COMPUTE_PGM_RSRC2:USER_SGPR: 15
; COMPUTE_PGM_RSRC2:TRAP_HANDLER: 0
; COMPUTE_PGM_RSRC2:TGID_X_EN: 1
; COMPUTE_PGM_RSRC2:TGID_Y_EN: 0
; COMPUTE_PGM_RSRC2:TGID_Z_EN: 0
; COMPUTE_PGM_RSRC2:TIDIG_COMP_CNT: 0
	.section	.text._ZL16k_set_rows_quantIl10block_q5_0Li32ETnPFvPKfPT0_EXadL_ZL23quantize_f32_q5_0_blockS2_PS0_EEEvS2_PKT_S4_llllllllllllll15HIP_vector_typeIjLj3EESC_SC_SC_SC_,"axG",@progbits,_ZL16k_set_rows_quantIl10block_q5_0Li32ETnPFvPKfPT0_EXadL_ZL23quantize_f32_q5_0_blockS2_PS0_EEEvS2_PKT_S4_llllllllllllll15HIP_vector_typeIjLj3EESC_SC_SC_SC_,comdat
	.globl	_ZL16k_set_rows_quantIl10block_q5_0Li32ETnPFvPKfPT0_EXadL_ZL23quantize_f32_q5_0_blockS2_PS0_EEEvS2_PKT_S4_llllllllllllll15HIP_vector_typeIjLj3EESC_SC_SC_SC_ ; -- Begin function _ZL16k_set_rows_quantIl10block_q5_0Li32ETnPFvPKfPT0_EXadL_ZL23quantize_f32_q5_0_blockS2_PS0_EEEvS2_PKT_S4_llllllllllllll15HIP_vector_typeIjLj3EESC_SC_SC_SC_
	.p2align	8
	.type	_ZL16k_set_rows_quantIl10block_q5_0Li32ETnPFvPKfPT0_EXadL_ZL23quantize_f32_q5_0_blockS2_PS0_EEEvS2_PKT_S4_llllllllllllll15HIP_vector_typeIjLj3EESC_SC_SC_SC_,@function
_ZL16k_set_rows_quantIl10block_q5_0Li32ETnPFvPKfPT0_EXadL_ZL23quantize_f32_q5_0_blockS2_PS0_EEEvS2_PKT_S4_llllllllllllll15HIP_vector_typeIjLj3EESC_SC_SC_SC_: ; @_ZL16k_set_rows_quantIl10block_q5_0Li32ETnPFvPKfPT0_EXadL_ZL23quantize_f32_q5_0_blockS2_PS0_EEEvS2_PKT_S4_llllllllllllll15HIP_vector_typeIjLj3EESC_SC_SC_SC_
; %bb.0:
	s_clause 0x1
	s_load_b32 s4, s[0:1], 0xd4
	s_load_b64 s[2:3], s[0:1], 0x18
	v_mov_b32_e32 v1, 0
	s_waitcnt lgkmcnt(0)
	s_and_b32 s4, s4, 0xffff
	s_delay_alu instid0(VALU_DEP_1) | instid1(SALU_CYCLE_1)
	v_mad_u64_u32 v[2:3], null, s4, s15, v[0:1]
	s_delay_alu instid0(VALU_DEP_1)
	v_cmp_gt_i64_e32 vcc_lo, s[2:3], v[2:3]
	s_and_saveexec_b32 s2, vcc_lo
	s_cbranch_execz .LBB5_4
; %bb.1:
	s_load_b256 s[20:27], s[0:1], 0x88
	v_lshlrev_b32_e32 v12, 5, v2
	s_clause 0x2
	s_load_b128 s[28:31], s[0:1], 0xa8
	s_load_b512 s[4:19], s[0:1], 0x40
	s_load_b64 s[2:3], s[0:1], 0x10
	s_waitcnt lgkmcnt(0)
	v_mul_hi_u32 v0, s20, v12
	s_delay_alu instid0(VALU_DEP_1) | instskip(NEXT) | instid1(VALU_DEP_1)
	v_add_nc_u32_e32 v0, v12, v0
	v_lshrrev_b32_e32 v11, s21, v0
	s_delay_alu instid0(VALU_DEP_1) | instskip(SKIP_1) | instid1(VALU_DEP_2)
	v_mul_hi_u32 v0, v11, s23
	v_mul_lo_u32 v13, v11, s22
	v_add_nc_u32_e32 v0, v11, v0
	s_delay_alu instid0(VALU_DEP_1) | instskip(NEXT) | instid1(VALU_DEP_1)
	v_lshrrev_b32_e32 v0, s24, v0
	v_mul_hi_u32 v2, v0, s26
	s_delay_alu instid0(VALU_DEP_1) | instskip(NEXT) | instid1(VALU_DEP_1)
	v_add_nc_u32_e32 v2, v0, v2
	v_lshrrev_b32_e32 v46, s27, v2
	v_mul_lo_u32 v2, v0, s25
	s_load_b128 s[24:27], s[0:1], 0x0
	s_delay_alu instid0(VALU_DEP_2) | instskip(SKIP_1) | instid1(VALU_DEP_3)
	v_mul_lo_u32 v3, v46, s28
	v_mad_u64_u32 v[8:9], null, v46, s8, 0
	v_sub_nc_u32_e32 v29, v11, v2
	s_delay_alu instid0(VALU_DEP_3) | instskip(NEXT) | instid1(VALU_DEP_2)
	v_sub_nc_u32_e32 v47, v0, v3
	v_mad_u64_u32 v[2:3], null, v29, s4, 0
	v_mad_u64_u32 v[30:31], null, v29, s10, 0
	s_delay_alu instid0(VALU_DEP_3) | instskip(SKIP_2) | instid1(VALU_DEP_4)
	v_mad_u64_u32 v[6:7], null, v47, s6, 0
	v_mul_hi_u32 v26, v47, s29
	s_load_b32 s6, s[0:1], 0xc0
	v_mov_b32_e32 v0, v3
	s_delay_alu instid0(VALU_DEP_3) | instskip(NEXT) | instid1(VALU_DEP_2)
	v_mov_b32_e32 v3, v7
	v_mad_u64_u32 v[4:5], null, v29, s5, v[0:1]
	s_load_b64 s[4:5], s[0:1], 0xb8
	s_delay_alu instid0(VALU_DEP_4) | instskip(SKIP_1) | instid1(VALU_DEP_1)
	v_add_nc_u32_e32 v26, v47, v26
	s_load_b64 s[0:1], s[0:1], 0x80
	v_lshrrev_b32_e32 v26, s30, v26
	s_delay_alu instid0(VALU_DEP_1) | instskip(NEXT) | instid1(VALU_DEP_1)
	v_mul_lo_u32 v26, v26, s31
	v_sub_nc_u32_e32 v37, v47, v26
	s_waitcnt lgkmcnt(0)
	v_mul_hi_u32 v27, v46, s4
	v_mov_b32_e32 v26, v31
	s_add_u32 s4, 0, 0x2e8b0a00
	v_mad_u64_u32 v[32:33], null, v37, s12, 0
	s_delay_alu instid0(VALU_DEP_3) | instskip(NEXT) | instid1(VALU_DEP_1)
	v_add_nc_u32_e32 v27, v46, v27
	v_lshrrev_b32_e32 v27, s5, v27
	s_addc_u32 s5, 0, 42
	s_delay_alu instid0(SALU_CYCLE_1) | instskip(NEXT) | instid1(VALU_DEP_1)
	s_add_i32 s5, s5, 0xba2e890
	v_mul_lo_u32 v27, v27, s6
	s_mul_i32 s6, s4, 0xffffffea
	s_delay_alu instid0(SALU_CYCLE_1) | instskip(NEXT) | instid1(VALU_DEP_1)
	s_mul_hi_u32 s8, s5, s6
	v_sub_nc_u32_e32 v38, v46, v27
	v_mad_u64_u32 v[27:28], null, v29, s11, v[26:27]
	v_mov_b32_e32 v26, v33
	s_delay_alu instid0(VALU_DEP_3)
	v_mad_u64_u32 v[34:35], null, v38, s14, 0
	v_mov_b32_e32 v0, v9
	v_mad_u64_u32 v[9:10], null, v47, s7, v[3:4]
	v_mov_b32_e32 v3, v4
	v_mov_b32_e32 v31, v27
	s_mul_hi_u32 s7, s4, s6
	v_mov_b32_e32 v33, v35
	v_mad_u64_u32 v[10:11], null, v46, s9, v[0:1]
	v_mov_b32_e32 v7, v9
	v_lshlrev_b64 v[4:5], 2, v[2:3]
	v_sub_nc_u32_e32 v0, v12, v13
	v_mad_u64_u32 v[35:36], null, v37, s13, v[26:27]
	s_delay_alu instid0(VALU_DEP_4) | instskip(SKIP_3) | instid1(VALU_DEP_3)
	v_lshlrev_b64 v[6:7], 2, v[6:7]
	v_mov_b32_e32 v9, v10
	v_add_co_u32 v2, vcc_lo, s24, v4
	v_add_co_ci_u32_e32 v3, vcc_lo, s25, v5, vcc_lo
	v_lshlrev_b64 v[8:9], 2, v[8:9]
	s_delay_alu instid0(VALU_DEP_3) | instskip(NEXT) | instid1(VALU_DEP_3)
	v_add_co_u32 v2, vcc_lo, v2, v6
	v_add_co_ci_u32_e32 v3, vcc_lo, v3, v7, vcc_lo
	v_lshlrev_b64 v[42:43], 2, v[0:1]
	s_delay_alu instid0(VALU_DEP_3) | instskip(NEXT) | instid1(VALU_DEP_3)
	v_add_co_u32 v2, vcc_lo, v2, v8
	v_add_co_ci_u32_e32 v3, vcc_lo, v3, v9, vcc_lo
	v_mad_u64_u32 v[36:37], null, v38, s15, v[33:34]
	s_delay_alu instid0(VALU_DEP_3) | instskip(NEXT) | instid1(VALU_DEP_3)
	v_add_co_u32 v2, vcc_lo, v2, v42
	v_add_co_ci_u32_e32 v3, vcc_lo, v3, v43, vcc_lo
	s_clause 0x4
	global_load_b128 v[10:13], v[2:3], off
	global_load_b128 v[14:17], v[2:3], off offset:16
	global_load_b128 v[18:21], v[2:3], off offset:32
	;; [unrolled: 1-line block ×4, first 2 shown]
	v_mov_b32_e32 v33, v35
	v_lshlrev_b64 v[30:31], 3, v[30:31]
	v_mov_b32_e32 v35, v36
	s_mul_i32 s9, s5, 0xffffffea
	v_lshrrev_b32_e32 v0, 5, v0
	v_lshlrev_b64 v[32:33], 3, v[32:33]
	s_delay_alu instid0(VALU_DEP_4) | instskip(SKIP_2) | instid1(VALU_DEP_3)
	v_add_co_u32 v36, vcc_lo, s26, v30
	v_add_co_ci_u32_e32 v37, vcc_lo, s27, v31, vcc_lo
	v_lshlrev_b64 v[30:31], 3, v[34:35]
	v_add_co_u32 v32, vcc_lo, v36, v32
	s_delay_alu instid0(VALU_DEP_3) | instskip(SKIP_1) | instid1(VALU_DEP_3)
	v_add_co_ci_u32_e32 v33, vcc_lo, v37, v33, vcc_lo
	v_mul_lo_u32 v0, v0, 22
	v_add_co_u32 v30, vcc_lo, v32, v30
	s_delay_alu instid0(VALU_DEP_3)
	v_add_co_ci_u32_e32 v31, vcc_lo, v33, v31, vcc_lo
	global_load_b64 v[44:45], v[30:31], off
	s_clause 0x2
	global_load_b128 v[30:33], v[2:3], off offset:80
	global_load_b128 v[34:37], v[2:3], off offset:96
	;; [unrolled: 1-line block ×3, first 2 shown]
	s_waitcnt vmcnt(8)
	v_cmp_lg_f32_e32 vcc_lo, 0, v10
	v_cndmask_b32_e32 v48, 0, v10, vcc_lo
	v_cndmask_b32_e64 v10, 0, |v10|, vcc_lo
	s_delay_alu instid0(VALU_DEP_1) | instskip(NEXT) | instid1(VALU_DEP_1)
	v_cmp_lt_f32_e64 vcc_lo, v10, |v11|
	v_cndmask_b32_e64 v10, v10, |v11|, vcc_lo
	s_delay_alu instid0(VALU_DEP_4) | instskip(NEXT) | instid1(VALU_DEP_2)
	v_cndmask_b32_e32 v48, v48, v11, vcc_lo
	v_cmp_lt_f32_e64 vcc_lo, v10, |v12|
	s_delay_alu instid0(VALU_DEP_1) | instskip(NEXT) | instid1(VALU_DEP_3)
	v_cndmask_b32_e64 v10, v10, |v12|, vcc_lo
	v_cndmask_b32_e32 v11, v48, v12, vcc_lo
	s_delay_alu instid0(VALU_DEP_2) | instskip(NEXT) | instid1(VALU_DEP_2)
	v_cmp_lt_f32_e64 vcc_lo, v10, |v13|
	v_cndmask_b32_e32 v11, v11, v13, vcc_lo
	s_delay_alu instid0(VALU_DEP_2) | instskip(SKIP_1) | instid1(VALU_DEP_1)
	v_cndmask_b32_e64 v10, v10, |v13|, vcc_lo
	s_waitcnt vmcnt(7)
	v_cmp_lt_f32_e64 vcc_lo, v10, |v14|
	s_delay_alu instid0(VALU_DEP_1) | instskip(SKIP_3) | instid1(VALU_DEP_3)
	v_cndmask_b32_e64 v10, v10, |v14|, vcc_lo
	v_cndmask_b32_e32 v11, v11, v14, vcc_lo
	s_waitcnt vmcnt(3)
	v_mul_lo_u32 v14, v45, s16
	v_cmp_lt_f32_e64 vcc_lo, v10, |v15|
	s_delay_alu instid0(VALU_DEP_1) | instskip(SKIP_2) | instid1(VALU_DEP_3)
	v_cndmask_b32_e64 v10, v10, |v15|, vcc_lo
	v_cndmask_b32_e32 v11, v11, v15, vcc_lo
	v_mul_lo_u32 v15, v44, s17
	v_cmp_lt_f32_e64 vcc_lo, v10, |v16|
	s_delay_alu instid0(VALU_DEP_1) | instskip(NEXT) | instid1(VALU_DEP_4)
	v_cndmask_b32_e64 v10, v10, |v16|, vcc_lo
	v_cndmask_b32_e32 v11, v11, v16, vcc_lo
	s_delay_alu instid0(VALU_DEP_2) | instskip(NEXT) | instid1(VALU_DEP_1)
	v_cmp_lt_f32_e64 vcc_lo, v10, |v17|
	v_cndmask_b32_e64 v10, v10, |v17|, vcc_lo
	s_delay_alu instid0(VALU_DEP_3) | instskip(NEXT) | instid1(VALU_DEP_2)
	v_cndmask_b32_e32 v11, v11, v17, vcc_lo
	v_cmp_lt_f32_e64 vcc_lo, v10, |v18|
	s_delay_alu instid0(VALU_DEP_1) | instskip(NEXT) | instid1(VALU_DEP_3)
	v_cndmask_b32_e64 v10, v10, |v18|, vcc_lo
	v_cndmask_b32_e32 v11, v11, v18, vcc_lo
	s_delay_alu instid0(VALU_DEP_2) | instskip(NEXT) | instid1(VALU_DEP_1)
	v_cmp_lt_f32_e64 vcc_lo, v10, |v19|
	v_cndmask_b32_e64 v10, v10, |v19|, vcc_lo
	s_delay_alu instid0(VALU_DEP_3) | instskip(NEXT) | instid1(VALU_DEP_2)
	v_cndmask_b32_e32 v11, v11, v19, vcc_lo
	v_cmp_lt_f32_e64 vcc_lo, v10, |v20|
	s_delay_alu instid0(VALU_DEP_1) | instskip(NEXT) | instid1(VALU_DEP_3)
	;; [unrolled: 9-line block ×6, first 2 shown]
	v_cndmask_b32_e64 v13, v10, |v28|, vcc_lo
	v_cndmask_b32_e32 v12, v11, v28, vcc_lo
	v_mad_u64_u32 v[10:11], null, v44, s16, 0
	s_delay_alu instid0(VALU_DEP_3) | instskip(NEXT) | instid1(VALU_DEP_1)
	v_cmp_lt_f32_e64 vcc_lo, v13, |v29|
	v_cndmask_b32_e64 v13, v13, |v29|, vcc_lo
	s_delay_alu instid0(VALU_DEP_4) | instskip(NEXT) | instid1(VALU_DEP_4)
	v_cndmask_b32_e32 v12, v12, v29, vcc_lo
	v_add3_u32 v11, v11, v15, v14
	s_waitcnt vmcnt(2)
	s_delay_alu instid0(VALU_DEP_3) | instskip(NEXT) | instid1(VALU_DEP_1)
	v_cmp_lt_f32_e64 vcc_lo, v13, |v30|
	v_cndmask_b32_e64 v15, v13, |v30|, vcc_lo
	v_cndmask_b32_e32 v14, v12, v30, vcc_lo
	v_mad_u64_u32 v[12:13], null, v46, s0, v[10:11]
	s_mul_hi_u32 s0, s4, 0xffffffea
	s_delay_alu instid0(VALU_DEP_3) | instskip(SKIP_1) | instid1(SALU_CYCLE_1)
	v_cmp_lt_f32_e64 vcc_lo, v15, |v31|
	s_sub_i32 s0, s0, s4
	s_add_i32 s0, s0, s9
	v_cndmask_b32_e32 v11, v14, v31, vcc_lo
	s_delay_alu instid0(VALU_DEP_2) | instskip(NEXT) | instid1(VALU_DEP_4)
	v_cndmask_b32_e64 v15, v15, |v31|, vcc_lo
	v_mov_b32_e32 v10, v13
	s_mul_i32 s9, s4, s0
	s_mul_hi_u32 s10, s5, s0
	s_add_u32 s7, s7, s9
	v_cmp_lt_f32_e64 vcc_lo, v15, |v32|
	v_mad_u64_u32 v[13:14], null, v46, s1, v[10:11]
	s_mul_i32 s1, s5, s6
	s_mul_hi_u32 s6, s4, s0
	v_cndmask_b32_e32 v10, v11, v32, vcc_lo
	v_cndmask_b32_e64 v11, v15, |v32|, vcc_lo
	s_addc_u32 s6, 0, s6
	s_add_u32 s1, s7, s1
	s_delay_alu instid0(VALU_DEP_3) | instskip(NEXT) | instid1(VALU_DEP_2)
	v_mad_u64_u32 v[14:15], null, v47, s18, v[12:13]
	v_cmp_lt_f32_e64 vcc_lo, v11, |v33|
	s_mul_i32 s0, s5, s0
	s_addc_u32 s1, s6, s8
	s_addc_u32 s6, s10, 0
	s_add_u32 s0, s1, s0
	v_cndmask_b32_e64 v11, v11, |v33|, vcc_lo
	v_cndmask_b32_e32 v10, v10, v33, vcc_lo
	v_add_co_u32 v17, s0, s4, s0
	s_addc_u32 s1, 0, s6
	s_waitcnt vmcnt(1)
	v_cmp_lt_f32_e64 vcc_lo, v11, |v34|
	s_cmp_lg_u32 s0, 0
	v_mul_hi_u32 v19, v14, v17
	s_addc_u32 s0, s5, s1
	s_mov_b32 s4, 0xbd800000
	v_cndmask_b32_e64 v11, v11, |v34|, vcc_lo
	v_cndmask_b32_e32 v16, v10, v34, vcc_lo
	v_mov_b32_e32 v10, v15
	s_delay_alu instid0(VALU_DEP_3) | instskip(NEXT) | instid1(VALU_DEP_2)
	v_cmp_lt_f32_e64 vcc_lo, v11, |v35|
	v_mad_u64_u32 v[12:13], null, v47, s19, v[10:11]
	s_delay_alu instid0(VALU_DEP_2) | instskip(SKIP_2) | instid1(VALU_DEP_3)
	v_cndmask_b32_e64 v18, v11, |v35|, vcc_lo
	v_cndmask_b32_e32 v13, v16, v35, vcc_lo
	v_mad_u64_u32 v[10:11], null, v14, s0, 0
	v_cmp_lt_f32_e64 vcc_lo, v18, |v36|
	v_mad_u64_u32 v[15:16], null, v12, v17, 0
	s_delay_alu instid0(VALU_DEP_4) | instskip(NEXT) | instid1(VALU_DEP_3)
	v_cndmask_b32_e32 v13, v13, v36, vcc_lo
	v_cndmask_b32_e64 v17, v18, |v36|, vcc_lo
	v_add_co_u32 v18, vcc_lo, v19, v10
	v_add_co_ci_u32_e32 v19, vcc_lo, 0, v11, vcc_lo
	v_mad_u64_u32 v[10:11], null, v12, s0, 0
	s_delay_alu instid0(VALU_DEP_4) | instskip(NEXT) | instid1(VALU_DEP_4)
	v_cmp_lt_f32_e64 s0, v17, |v37|
	v_add_co_u32 v15, vcc_lo, v18, v15
	s_delay_alu instid0(VALU_DEP_4) | instskip(NEXT) | instid1(VALU_DEP_3)
	v_add_co_ci_u32_e32 v15, vcc_lo, v19, v16, vcc_lo
	v_cndmask_b32_e64 v17, v17, |v37|, s0
	v_cndmask_b32_e64 v13, v13, v37, s0
	v_add_co_ci_u32_e32 v11, vcc_lo, 0, v11, vcc_lo
	s_delay_alu instid0(VALU_DEP_4) | instskip(SKIP_2) | instid1(VALU_DEP_3)
	v_add_co_u32 v18, vcc_lo, v15, v10
	s_waitcnt vmcnt(0)
	v_cmp_lt_f32_e64 s0, v17, |v38|
	v_add_co_ci_u32_e32 v19, vcc_lo, 0, v11, vcc_lo
	s_delay_alu instid0(VALU_DEP_3) | instskip(NEXT) | instid1(VALU_DEP_3)
	v_mad_u64_u32 v[15:16], null, v18, 22, 0
	v_cndmask_b32_e64 v17, v17, |v38|, s0
	v_cndmask_b32_e64 v11, v13, v38, s0
	v_add_co_u32 v6, s0, v8, v6
	s_delay_alu instid0(VALU_DEP_1) | instskip(NEXT) | instid1(VALU_DEP_4)
	v_add_co_ci_u32_e64 v7, s0, v9, v7, s0
	v_cmp_lt_f32_e64 vcc_lo, v17, |v39|
	v_mov_b32_e32 v13, v16
	v_sub_co_u32 v9, s0, v14, v15
	v_mov_b32_e32 v10, 0
	v_cndmask_b32_e32 v20, v11, v39, vcc_lo
	v_cndmask_b32_e64 v21, v17, |v39|, vcc_lo
	v_mad_u64_u32 v[16:17], null, v19, 22, v[13:14]
	v_mov_b32_e32 v11, 0
	s_delay_alu instid0(VALU_DEP_3) | instskip(NEXT) | instid1(VALU_DEP_1)
	v_cmp_lt_f32_e64 vcc_lo, v21, |v40|
	v_cndmask_b32_e64 v13, v21, |v40|, vcc_lo
	v_cndmask_b32_e32 v8, v20, v40, vcc_lo
	v_sub_co_ci_u32_e64 v12, vcc_lo, v12, v16, s0
	v_sub_co_u32 v14, vcc_lo, v9, 22
	s_delay_alu instid0(VALU_DEP_4) | instskip(NEXT) | instid1(VALU_DEP_3)
	v_cmp_lt_f32_e64 s0, v13, |v41|
	v_subrev_co_ci_u32_e32 v17, vcc_lo, 0, v12, vcc_lo
	s_delay_alu instid0(VALU_DEP_3) | instskip(NEXT) | instid1(VALU_DEP_3)
	v_cmp_lt_u32_e32 vcc_lo, 21, v14
	v_cndmask_b32_e64 v13, v8, v41, s0
	v_add_co_u32 v8, s0, v18, 2
	v_cndmask_b32_e64 v14, 0, -1, vcc_lo
	v_cmp_lt_u32_e32 vcc_lo, 21, v9
	s_delay_alu instid0(VALU_DEP_4) | instskip(SKIP_2) | instid1(VALU_DEP_3)
	v_mul_f32_e32 v16, 0xbd800000, v13
	v_add_co_ci_u32_e64 v15, s0, 0, v19, s0
	v_add_co_u32 v4, s0, v6, v4
	v_div_scale_f32 v20, null, v16, v16, 1.0
	v_cndmask_b32_e64 v9, 0, -1, vcc_lo
	v_cmp_eq_u32_e32 vcc_lo, 0, v17
	v_add_co_ci_u32_e64 v5, s0, v7, v5, s0
	s_delay_alu instid0(VALU_DEP_4)
	v_rcp_f32_e32 v17, v20
	v_add_co_u32 v4, s1, v4, v42
	v_cndmask_b32_e32 v14, -1, v14, vcc_lo
	v_add_co_u32 v21, vcc_lo, v18, 1
	v_add_co_ci_u32_e32 v22, vcc_lo, 0, v19, vcc_lo
	v_cmp_eq_u32_e32 vcc_lo, 0, v12
	v_add_co_ci_u32_e64 v5, s1, v5, v43, s1
	s_delay_alu instid0(TRANS32_DEP_1)
	v_fma_f32 v7, -v20, v17, 1.0
	v_fma_mixlo_f16 v13, v13, s4, 0
	v_cndmask_b32_e32 v9, -1, v9, vcc_lo
	v_cmp_ne_u32_e32 vcc_lo, 0, v14
	s_mov_b32 s1, 0
	v_fmac_f32_e32 v17, v7, v17
	s_delay_alu instid0(VALU_DEP_3) | instskip(SKIP_3) | instid1(VALU_DEP_3)
	v_cmp_ne_u32_e64 s0, 0, v9
	v_cndmask_b32_e32 v6, v22, v15, vcc_lo
	v_cndmask_b32_e32 v8, v21, v8, vcc_lo
	v_div_scale_f32 v12, vcc_lo, 1.0, v16, 1.0
	v_cndmask_b32_e64 v6, v19, v6, s0
	s_delay_alu instid0(VALU_DEP_3) | instskip(NEXT) | instid1(VALU_DEP_3)
	v_cndmask_b32_e64 v7, v18, v8, s0
	v_mul_f32_e32 v14, v12, v17
	v_add_co_u32 v15, s0, v4, s24
	s_delay_alu instid0(VALU_DEP_4) | instskip(SKIP_1) | instid1(VALU_DEP_4)
	v_mul_lo_u32 v19, v6, 22
	v_add_co_ci_u32_e64 v18, s0, s25, v5, s0
	v_fma_f32 v6, -v20, v14, v12
	v_mad_u64_u32 v[4:5], null, v7, 22, s[2:3]
	v_mad_u64_u32 v[8:9], null, v7, 22, v[0:1]
	s_delay_alu instid0(VALU_DEP_3) | instskip(SKIP_1) | instid1(VALU_DEP_1)
	v_fmac_f32_e32 v14, v6, v17
	v_add_co_u32 v6, s0, v15, 64
	v_add_co_ci_u32_e64 v7, s0, 0, v18, s0
	s_delay_alu instid0(VALU_DEP_3) | instskip(SKIP_2) | instid1(VALU_DEP_3)
	v_fma_f32 v12, -v20, v14, v12
	v_add_nc_u32_e32 v5, v19, v5
	v_add_nc_u32_e32 v9, v19, v9
	v_div_fmas_f32 v12, v12, v17, v14
	v_add_co_u32 v4, vcc_lo, v4, v0
	s_delay_alu instid0(VALU_DEP_4)
	v_add_co_ci_u32_e32 v5, vcc_lo, 0, v5, vcc_lo
	v_add_co_u32 v0, vcc_lo, s2, v8
	v_add_co_ci_u32_e32 v8, vcc_lo, s3, v9, vcc_lo
	v_div_fixup_f32 v12, v12, v16, 1.0
	v_cmp_neq_f32_e32 vcc_lo, 0, v16
	s_mov_b64 s[2:3], 0
	global_store_b16 v[4:5], v13, off
	v_dual_cndmask_b32 v9, 0, v12 :: v_dual_mov_b32 v12, 0
.LBB5_2:                                ; =>This Inner Loop Header: Depth=1
	s_clause 0x1
	global_load_b64 v[13:14], v[6:7], off offset:-64
	global_load_b32 v17, v[6:7], off
	s_or_b32 s0, s2, 17
	v_lshlrev_b32_e32 v11, 16, v11
	s_lshl_b64 s[4:5], s[0:1], 2
	v_and_b32_e32 v1, 0xff, v1
	v_add_co_u32 v15, vcc_lo, v2, s4
	v_add_co_ci_u32_e32 v16, vcc_lo, s5, v3, vcc_lo
	v_perm_b32 v11, v12, v11, 0x4020c0c
	s_add_i32 s4, s2, 16
	s_add_i32 s5, s2, 1
	global_load_b32 v18, v[15:16], off
	v_lshlrev_b32_e32 v10, 8, v10
	s_delay_alu instid0(VALU_DEP_1) | instskip(NEXT) | instid1(VALU_DEP_1)
	v_and_b32_e32 v10, 0xff00, v10
	v_or3_b32 v1, v11, v10, v1
	s_waitcnt vmcnt(2)
	v_fmaak_f32 v13, v9, v13, 0x41840000
	s_waitcnt vmcnt(1)
	v_fmaak_f32 v15, v9, v17, 0x41840000
	v_fmaak_f32 v17, v9, v14, 0x41840000
	s_delay_alu instid0(VALU_DEP_3) | instskip(NEXT) | instid1(VALU_DEP_1)
	v_cvt_i32_f32_e32 v13, v13
	v_cvt_f64_i32_e32 v[13:14], v13
	s_waitcnt vmcnt(0)
	v_fmaak_f32 v19, v9, v18, 0x41840000
	s_delay_alu instid0(VALU_DEP_2) | instskip(NEXT) | instid1(VALU_DEP_1)
	v_min_f64 v[13:14], 0x403f0000, v[13:14]
	v_cvt_i32_f64_e32 v21, v[13:14]
	v_add_co_u32 v13, vcc_lo, v0, s2
	v_add_co_ci_u32_e32 v14, vcc_lo, s3, v8, vcc_lo
	v_add_co_u32 v6, vcc_lo, v6, 8
	v_add_co_ci_u32_e32 v7, vcc_lo, 0, v7, vcc_lo
	v_lshrrev_b16 v10, 4, v21
	v_and_b32_e32 v12, 15, v21
	v_cvt_i32_f32_e32 v17, v17
	s_delay_alu instid0(VALU_DEP_3) | instskip(SKIP_1) | instid1(VALU_DEP_3)
	v_and_b32_e32 v10, 1, v10
	v_cvt_i32_f32_e32 v15, v15
	v_cvt_f64_i32_e32 v[17:18], v17
	s_delay_alu instid0(VALU_DEP_3) | instskip(NEXT) | instid1(VALU_DEP_3)
	v_and_b32_e32 v10, 0xffff, v10
	v_cvt_f64_i32_e32 v[15:16], v15
	s_delay_alu instid0(VALU_DEP_2) | instskip(SKIP_3) | instid1(VALU_DEP_4)
	v_lshlrev_b32_e32 v10, s2, v10
	s_add_u32 s2, s2, 2
	s_addc_u32 s3, s3, 0
	s_cmp_lg_u32 s2, 16
	v_min_f64 v[17:18], 0x403f0000, v[17:18]
	s_delay_alu instid0(VALU_DEP_3) | instskip(NEXT) | instid1(VALU_DEP_1)
	v_min_f64 v[15:16], 0x403f0000, v[15:16]
	v_cvt_i32_f64_e32 v15, v[15:16]
	s_delay_alu instid0(VALU_DEP_3) | instskip(NEXT) | instid1(VALU_DEP_2)
	v_cvt_i32_f64_e32 v16, v[17:18]
	v_lshrrev_b16 v11, 4, v15
	s_delay_alu instid0(VALU_DEP_2)
	v_lshrrev_b16 v18, 4, v16
	v_and_b32_e32 v16, 15, v16
	v_cvt_i32_f32_e32 v19, v19
	v_lshlrev_b16 v15, 4, v15
	v_and_b32_e32 v11, 1, v11
	v_and_b32_e32 v18, 1, v18
	s_delay_alu instid0(VALU_DEP_4) | instskip(NEXT) | instid1(VALU_DEP_4)
	v_cvt_f64_i32_e32 v[19:20], v19
	v_or_b32_e32 v12, v15, v12
	s_delay_alu instid0(VALU_DEP_4) | instskip(NEXT) | instid1(VALU_DEP_4)
	v_and_b32_e32 v11, 0xffff, v11
	v_and_b32_e32 v15, 0xffff, v18
	s_delay_alu instid0(VALU_DEP_3) | instskip(NEXT) | instid1(VALU_DEP_3)
	v_and_b32_e32 v12, 0xff, v12
	v_lshlrev_b32_e32 v11, s4, v11
	s_delay_alu instid0(VALU_DEP_1) | instskip(SKIP_1) | instid1(VALU_DEP_2)
	v_or3_b32 v1, v10, v1, v11
	v_lshlrev_b16 v10, 8, v16
	v_lshl_or_b32 v1, v15, s5, v1
	v_min_f64 v[19:20], 0x403f0000, v[19:20]
	s_delay_alu instid0(VALU_DEP_1) | instskip(NEXT) | instid1(VALU_DEP_1)
	v_cvt_i32_f64_e32 v17, v[19:20]
	v_lshrrev_b16 v19, 4, v17
	v_lshlrev_b16 v11, 12, v17
	s_delay_alu instid0(VALU_DEP_2) | instskip(NEXT) | instid1(VALU_DEP_2)
	v_and_b32_e32 v18, 1, v19
	v_or_b32_e32 v10, v11, v10
	s_delay_alu instid0(VALU_DEP_2) | instskip(NEXT) | instid1(VALU_DEP_1)
	v_and_b32_e32 v16, 0xffff, v18
	v_lshl_or_b32 v15, v16, s0, v1
	s_delay_alu instid0(VALU_DEP_3) | instskip(SKIP_1) | instid1(VALU_DEP_3)
	v_or_b32_e32 v16, v12, v10
	v_lshrrev_b32_e32 v10, 8, v1
	v_lshrrev_b32_e32 v11, 16, v15
	;; [unrolled: 1-line block ×3, first 2 shown]
	global_store_b16 v[13:14], v16, off offset:6
	s_cbranch_scc1 .LBB5_2
; %bb.3:
	v_lshlrev_b16 v0, 8, v10
	v_and_b32_e32 v1, 0xff, v1
	v_lshlrev_b16 v2, 8, v12
	v_and_b32_e32 v3, 0xff, v11
	s_delay_alu instid0(VALU_DEP_3) | instskip(NEXT) | instid1(VALU_DEP_2)
	v_or_b32_e32 v0, v1, v0
	v_or_b32_e32 v1, v3, v2
	s_delay_alu instid0(VALU_DEP_2) | instskip(NEXT) | instid1(VALU_DEP_2)
	v_and_b32_e32 v0, 0xffff, v0
	v_lshlrev_b32_e32 v1, 16, v1
	s_delay_alu instid0(VALU_DEP_1)
	v_or_b32_e32 v0, v0, v1
	global_store_b32 v[4:5], v0, off offset:2
.LBB5_4:
	s_nop 0
	s_sendmsg sendmsg(MSG_DEALLOC_VGPRS)
	s_endpgm
	.section	.rodata,"a",@progbits
	.p2align	6, 0x0
	.amdhsa_kernel _ZL16k_set_rows_quantIl10block_q5_0Li32ETnPFvPKfPT0_EXadL_ZL23quantize_f32_q5_0_blockS2_PS0_EEEvS2_PKT_S4_llllllllllllll15HIP_vector_typeIjLj3EESC_SC_SC_SC_
		.amdhsa_group_segment_fixed_size 0
		.amdhsa_private_segment_fixed_size 0
		.amdhsa_kernarg_size 456
		.amdhsa_user_sgpr_count 15
		.amdhsa_user_sgpr_dispatch_ptr 0
		.amdhsa_user_sgpr_queue_ptr 0
		.amdhsa_user_sgpr_kernarg_segment_ptr 1
		.amdhsa_user_sgpr_dispatch_id 0
		.amdhsa_user_sgpr_private_segment_size 0
		.amdhsa_wavefront_size32 1
		.amdhsa_uses_dynamic_stack 0
		.amdhsa_enable_private_segment 0
		.amdhsa_system_sgpr_workgroup_id_x 1
		.amdhsa_system_sgpr_workgroup_id_y 0
		.amdhsa_system_sgpr_workgroup_id_z 0
		.amdhsa_system_sgpr_workgroup_info 0
		.amdhsa_system_vgpr_workitem_id 0
		.amdhsa_next_free_vgpr 49
		.amdhsa_next_free_sgpr 32
		.amdhsa_reserve_vcc 1
		.amdhsa_float_round_mode_32 0
		.amdhsa_float_round_mode_16_64 0
		.amdhsa_float_denorm_mode_32 3
		.amdhsa_float_denorm_mode_16_64 3
		.amdhsa_dx10_clamp 1
		.amdhsa_ieee_mode 1
		.amdhsa_fp16_overflow 0
		.amdhsa_workgroup_processor_mode 1
		.amdhsa_memory_ordered 1
		.amdhsa_forward_progress 0
		.amdhsa_shared_vgpr_count 0
		.amdhsa_exception_fp_ieee_invalid_op 0
		.amdhsa_exception_fp_denorm_src 0
		.amdhsa_exception_fp_ieee_div_zero 0
		.amdhsa_exception_fp_ieee_overflow 0
		.amdhsa_exception_fp_ieee_underflow 0
		.amdhsa_exception_fp_ieee_inexact 0
		.amdhsa_exception_int_div_zero 0
	.end_amdhsa_kernel
	.section	.text._ZL16k_set_rows_quantIl10block_q5_0Li32ETnPFvPKfPT0_EXadL_ZL23quantize_f32_q5_0_blockS2_PS0_EEEvS2_PKT_S4_llllllllllllll15HIP_vector_typeIjLj3EESC_SC_SC_SC_,"axG",@progbits,_ZL16k_set_rows_quantIl10block_q5_0Li32ETnPFvPKfPT0_EXadL_ZL23quantize_f32_q5_0_blockS2_PS0_EEEvS2_PKT_S4_llllllllllllll15HIP_vector_typeIjLj3EESC_SC_SC_SC_,comdat
.Lfunc_end5:
	.size	_ZL16k_set_rows_quantIl10block_q5_0Li32ETnPFvPKfPT0_EXadL_ZL23quantize_f32_q5_0_blockS2_PS0_EEEvS2_PKT_S4_llllllllllllll15HIP_vector_typeIjLj3EESC_SC_SC_SC_, .Lfunc_end5-_ZL16k_set_rows_quantIl10block_q5_0Li32ETnPFvPKfPT0_EXadL_ZL23quantize_f32_q5_0_blockS2_PS0_EEEvS2_PKT_S4_llllllllllllll15HIP_vector_typeIjLj3EESC_SC_SC_SC_
                                        ; -- End function
	.section	.AMDGPU.csdata,"",@progbits
; Kernel info:
; codeLenInByte = 2924
; NumSgprs: 34
; NumVgprs: 49
; ScratchSize: 0
; MemoryBound: 0
; FloatMode: 240
; IeeeMode: 1
; LDSByteSize: 0 bytes/workgroup (compile time only)
; SGPRBlocks: 4
; VGPRBlocks: 6
; NumSGPRsForWavesPerEU: 34
; NumVGPRsForWavesPerEU: 49
; Occupancy: 16
; WaveLimiterHint : 1
; COMPUTE_PGM_RSRC2:SCRATCH_EN: 0
; COMPUTE_PGM_RSRC2:USER_SGPR: 15
; COMPUTE_PGM_RSRC2:TRAP_HANDLER: 0
; COMPUTE_PGM_RSRC2:TGID_X_EN: 1
; COMPUTE_PGM_RSRC2:TGID_Y_EN: 0
; COMPUTE_PGM_RSRC2:TGID_Z_EN: 0
; COMPUTE_PGM_RSRC2:TIDIG_COMP_CNT: 0
	.section	.text._ZL16k_set_rows_quantIl10block_q5_1Li32ETnPFvPKfPT0_EXadL_ZL23quantize_f32_q5_1_blockS2_PS0_EEEvS2_PKT_S4_llllllllllllll15HIP_vector_typeIjLj3EESC_SC_SC_SC_,"axG",@progbits,_ZL16k_set_rows_quantIl10block_q5_1Li32ETnPFvPKfPT0_EXadL_ZL23quantize_f32_q5_1_blockS2_PS0_EEEvS2_PKT_S4_llllllllllllll15HIP_vector_typeIjLj3EESC_SC_SC_SC_,comdat
	.globl	_ZL16k_set_rows_quantIl10block_q5_1Li32ETnPFvPKfPT0_EXadL_ZL23quantize_f32_q5_1_blockS2_PS0_EEEvS2_PKT_S4_llllllllllllll15HIP_vector_typeIjLj3EESC_SC_SC_SC_ ; -- Begin function _ZL16k_set_rows_quantIl10block_q5_1Li32ETnPFvPKfPT0_EXadL_ZL23quantize_f32_q5_1_blockS2_PS0_EEEvS2_PKT_S4_llllllllllllll15HIP_vector_typeIjLj3EESC_SC_SC_SC_
	.p2align	8
	.type	_ZL16k_set_rows_quantIl10block_q5_1Li32ETnPFvPKfPT0_EXadL_ZL23quantize_f32_q5_1_blockS2_PS0_EEEvS2_PKT_S4_llllllllllllll15HIP_vector_typeIjLj3EESC_SC_SC_SC_,@function
_ZL16k_set_rows_quantIl10block_q5_1Li32ETnPFvPKfPT0_EXadL_ZL23quantize_f32_q5_1_blockS2_PS0_EEEvS2_PKT_S4_llllllllllllll15HIP_vector_typeIjLj3EESC_SC_SC_SC_: ; @_ZL16k_set_rows_quantIl10block_q5_1Li32ETnPFvPKfPT0_EXadL_ZL23quantize_f32_q5_1_blockS2_PS0_EEEvS2_PKT_S4_llllllllllllll15HIP_vector_typeIjLj3EESC_SC_SC_SC_
; %bb.0:
	s_clause 0x1
	s_load_b32 s4, s[0:1], 0xd4
	s_load_b64 s[2:3], s[0:1], 0x18
	v_mov_b32_e32 v1, 0
	s_waitcnt lgkmcnt(0)
	s_and_b32 s4, s4, 0xffff
	s_delay_alu instid0(VALU_DEP_1) | instid1(SALU_CYCLE_1)
	v_mad_u64_u32 v[2:3], null, s4, s15, v[0:1]
	s_delay_alu instid0(VALU_DEP_1)
	v_cmp_gt_i64_e32 vcc_lo, s[2:3], v[2:3]
	s_and_saveexec_b32 s2, vcc_lo
	s_cbranch_execz .LBB6_4
; %bb.1:
	s_load_b256 s[20:27], s[0:1], 0x88
	v_lshlrev_b32_e32 v14, 5, v2
	s_clause 0x2
	s_load_b128 s[28:31], s[0:1], 0xa8
	s_load_b512 s[4:19], s[0:1], 0x40
	s_load_b64 s[2:3], s[0:1], 0x10
	s_waitcnt lgkmcnt(0)
	v_mul_hi_u32 v0, s20, v14
	s_delay_alu instid0(VALU_DEP_1) | instskip(NEXT) | instid1(VALU_DEP_1)
	v_add_nc_u32_e32 v0, v14, v0
	v_lshrrev_b32_e32 v11, s21, v0
	s_delay_alu instid0(VALU_DEP_1) | instskip(SKIP_1) | instid1(VALU_DEP_2)
	v_mul_hi_u32 v0, v11, s23
	v_mul_lo_u32 v15, v11, s22
	v_add_nc_u32_e32 v0, v11, v0
	s_delay_alu instid0(VALU_DEP_1) | instskip(NEXT) | instid1(VALU_DEP_1)
	v_lshrrev_b32_e32 v0, s24, v0
	v_mul_hi_u32 v2, v0, s26
	s_delay_alu instid0(VALU_DEP_1) | instskip(NEXT) | instid1(VALU_DEP_1)
	v_add_nc_u32_e32 v2, v0, v2
	v_lshrrev_b32_e32 v13, s27, v2
	v_mul_lo_u32 v2, v0, s25
	s_load_b128 s[24:27], s[0:1], 0x0
	s_delay_alu instid0(VALU_DEP_2) | instskip(SKIP_1) | instid1(VALU_DEP_3)
	v_mul_lo_u32 v3, v13, s28
	v_mad_u64_u32 v[8:9], null, v13, s8, 0
	v_sub_nc_u32_e32 v27, v11, v2
	s_delay_alu instid0(VALU_DEP_3) | instskip(NEXT) | instid1(VALU_DEP_2)
	v_sub_nc_u32_e32 v12, v0, v3
	v_mad_u64_u32 v[2:3], null, v27, s4, 0
	v_mad_u64_u32 v[30:31], null, v27, s10, 0
	s_delay_alu instid0(VALU_DEP_3) | instskip(SKIP_2) | instid1(VALU_DEP_4)
	v_mad_u64_u32 v[6:7], null, v12, s6, 0
	v_mul_hi_u32 v22, v12, s29
	s_load_b32 s6, s[0:1], 0xc0
	v_mov_b32_e32 v0, v3
	s_delay_alu instid0(VALU_DEP_3) | instskip(NEXT) | instid1(VALU_DEP_2)
	v_mov_b32_e32 v3, v7
	v_mad_u64_u32 v[4:5], null, v27, s5, v[0:1]
	s_load_b64 s[4:5], s[0:1], 0xb8
	s_delay_alu instid0(VALU_DEP_4) | instskip(SKIP_1) | instid1(VALU_DEP_1)
	v_add_nc_u32_e32 v22, v12, v22
	s_load_b64 s[0:1], s[0:1], 0x80
	v_lshrrev_b32_e32 v22, s30, v22
	s_delay_alu instid0(VALU_DEP_1) | instskip(NEXT) | instid1(VALU_DEP_1)
	v_mul_lo_u32 v28, v22, s31
	v_sub_nc_u32_e32 v39, v12, v28
	s_waitcnt lgkmcnt(0)
	v_mul_hi_u32 v23, v13, s4
	s_add_u32 s4, 0, 0xaaaa0000
	s_delay_alu instid0(VALU_DEP_2) | instskip(NEXT) | instid1(VALU_DEP_2)
	v_mad_u64_u32 v[32:33], null, v39, s12, 0
	v_add_nc_u32_e32 v23, v13, v23
	s_delay_alu instid0(VALU_DEP_1) | instskip(SKIP_1) | instid1(SALU_CYCLE_1)
	v_lshrrev_b32_e32 v26, s5, v23
	s_addc_u32 s5, 0, 42
	s_add_i32 s5, s5, 0xaaaaa80
	s_delay_alu instid0(VALU_DEP_1) | instskip(SKIP_1) | instid1(SALU_CYCLE_1)
	v_mul_lo_u32 v26, v26, s6
	s_mul_i32 s6, s4, 0xffffffe8
	s_mul_hi_u32 s8, s4, s6
	s_mul_hi_u32 s10, s5, s6
	s_mul_i32 s6, s5, s6
	s_delay_alu instid0(VALU_DEP_1) | instskip(SKIP_1) | instid1(VALU_DEP_2)
	v_sub_nc_u32_e32 v40, v13, v26
	v_dual_mov_b32 v26, v31 :: v_dual_mov_b32 v31, v33
	v_mad_u64_u32 v[34:35], null, v40, s14, 0
	v_mov_b32_e32 v0, v9
	v_mad_u64_u32 v[9:10], null, v12, s7, v[3:4]
	v_mov_b32_e32 v3, v4
	;; [unrolled: 2-line block ×4, first 2 shown]
	v_lshlrev_b64 v[4:5], 2, v[2:3]
	v_sub_nc_u32_e32 v0, v14, v15
	v_mad_u64_u32 v[37:38], null, v39, s13, v[31:32]
	s_delay_alu instid0(VALU_DEP_4) | instskip(SKIP_3) | instid1(VALU_DEP_3)
	v_lshlrev_b64 v[6:7], 2, v[6:7]
	v_mov_b32_e32 v9, v10
	v_add_co_u32 v2, vcc_lo, s24, v4
	v_add_co_ci_u32_e32 v3, vcc_lo, s25, v5, vcc_lo
	v_lshlrev_b64 v[8:9], 2, v[8:9]
	s_delay_alu instid0(VALU_DEP_3) | instskip(NEXT) | instid1(VALU_DEP_3)
	v_add_co_u32 v2, vcc_lo, v2, v6
	v_add_co_ci_u32_e32 v3, vcc_lo, v3, v7, vcc_lo
	v_lshlrev_b64 v[10:11], 2, v[0:1]
	s_delay_alu instid0(VALU_DEP_3) | instskip(NEXT) | instid1(VALU_DEP_3)
	v_add_co_u32 v2, vcc_lo, v2, v8
	v_add_co_ci_u32_e32 v3, vcc_lo, v3, v9, vcc_lo
	v_mov_b32_e32 v31, v36
	s_delay_alu instid0(VALU_DEP_3) | instskip(NEXT) | instid1(VALU_DEP_3)
	v_add_co_u32 v2, vcc_lo, v2, v10
	v_add_co_ci_u32_e32 v3, vcc_lo, v3, v11, vcc_lo
	s_delay_alu instid0(VALU_DEP_3)
	v_lshlrev_b64 v[30:31], 3, v[30:31]
	v_mad_u64_u32 v[35:36], null, v40, s15, v[33:34]
	s_clause 0x3
	global_load_b128 v[14:17], v[2:3], off
	global_load_b128 v[18:21], v[2:3], off offset:16
	global_load_b128 v[22:25], v[2:3], off offset:32
	;; [unrolled: 1-line block ×3, first 2 shown]
	v_mov_b32_e32 v33, v37
	v_add_co_u32 v38, vcc_lo, s26, v30
	v_add_co_ci_u32_e32 v39, vcc_lo, s27, v31, vcc_lo
	s_delay_alu instid0(VALU_DEP_3)
	v_lshlrev_b64 v[36:37], 3, v[32:33]
	global_load_b128 v[30:33], v[2:3], off offset:64
	v_lshlrev_b64 v[34:35], 3, v[34:35]
	s_mul_hi_u32 s7, s4, 0xffffffe8
	s_mul_i32 s9, s5, 0xffffffe8
	s_sub_i32 s7, s7, s4
	v_add_co_u32 v36, vcc_lo, v38, v36
	v_add_co_ci_u32_e32 v37, vcc_lo, v39, v37, vcc_lo
	s_add_i32 s7, s7, s9
	s_delay_alu instid0(VALU_DEP_2) | instskip(NEXT) | instid1(VALU_DEP_2)
	v_add_co_u32 v34, vcc_lo, v36, v34
	v_add_co_ci_u32_e32 v35, vcc_lo, v37, v35, vcc_lo
	global_load_b64 v[46:47], v[34:35], off
	s_clause 0x2
	global_load_b128 v[34:37], v[2:3], off offset:80
	global_load_b128 v[38:41], v[2:3], off offset:96
	;; [unrolled: 1-line block ×3, first 2 shown]
	s_mul_i32 s11, s4, s7
	s_mul_hi_u32 s9, s4, s7
	s_add_u32 s8, s8, s11
	s_addc_u32 s9, 0, s9
	s_mul_hi_u32 s12, s5, s7
	s_mul_i32 s7, s5, s7
	v_lshrrev_b32_e32 v0, 5, v0
	s_delay_alu instid0(VALU_DEP_1)
	v_mul_lo_u32 v0, v0, 24
	s_waitcnt vmcnt(8)
	v_cmp_lt_f32_e32 vcc_lo, v15, v14
	v_cndmask_b32_e32 v48, v14, v15, vcc_lo
	v_cmp_gt_f32_e32 vcc_lo, v15, v14
	v_cndmask_b32_e32 v14, v14, v15, vcc_lo
	s_delay_alu instid0(VALU_DEP_3) | instskip(SKIP_1) | instid1(VALU_DEP_3)
	v_cmp_lt_f32_e32 vcc_lo, v16, v48
	v_cndmask_b32_e32 v15, v48, v16, vcc_lo
	v_cmp_gt_f32_e32 vcc_lo, v16, v14
	v_cndmask_b32_e32 v14, v14, v16, vcc_lo
	s_delay_alu instid0(VALU_DEP_3)
	v_cmp_lt_f32_e32 vcc_lo, v17, v15
	s_waitcnt vmcnt(3)
	v_mul_lo_u32 v16, v47, s16
	v_cndmask_b32_e32 v15, v15, v17, vcc_lo
	v_cmp_gt_f32_e32 vcc_lo, v17, v14
	v_cndmask_b32_e32 v14, v14, v17, vcc_lo
	s_delay_alu instid0(VALU_DEP_3) | instskip(SKIP_2) | instid1(VALU_DEP_4)
	v_cmp_lt_f32_e32 vcc_lo, v18, v15
	v_mul_lo_u32 v17, v46, s17
	v_cndmask_b32_e32 v15, v15, v18, vcc_lo
	v_cmp_gt_f32_e32 vcc_lo, v18, v14
	v_cndmask_b32_e32 v14, v14, v18, vcc_lo
	s_delay_alu instid0(VALU_DEP_3) | instskip(SKIP_1) | instid1(VALU_DEP_3)
	v_cmp_lt_f32_e32 vcc_lo, v19, v15
	v_cndmask_b32_e32 v15, v15, v19, vcc_lo
	v_cmp_gt_f32_e32 vcc_lo, v19, v14
	v_cndmask_b32_e32 v14, v14, v19, vcc_lo
	s_delay_alu instid0(VALU_DEP_3) | instskip(SKIP_1) | instid1(VALU_DEP_3)
	v_cmp_lt_f32_e32 vcc_lo, v20, v15
	;; [unrolled: 5-line block ×14, first 2 shown]
	v_cndmask_b32_e32 v18, v15, v32, vcc_lo
	v_cmp_gt_f32_e32 vcc_lo, v32, v14
	v_cndmask_b32_e32 v19, v14, v32, vcc_lo
	s_delay_alu instid0(VALU_DEP_3) | instskip(SKIP_2) | instid1(VALU_DEP_4)
	v_cmp_lt_f32_e32 vcc_lo, v33, v18
	v_mad_u64_u32 v[14:15], null, v46, s16, 0
	v_cndmask_b32_e32 v18, v18, v33, vcc_lo
	v_cmp_gt_f32_e32 vcc_lo, v33, v19
	s_delay_alu instid0(VALU_DEP_3) | instskip(SKIP_3) | instid1(VALU_DEP_3)
	v_add3_u32 v15, v15, v17, v16
	v_cndmask_b32_e32 v19, v19, v33, vcc_lo
	s_waitcnt vmcnt(2)
	v_cmp_lt_f32_e32 vcc_lo, v34, v18
	v_mad_u64_u32 v[16:17], null, v13, s0, v[14:15]
	s_add_u32 s0, s8, s6
	v_cndmask_b32_e32 v18, v18, v34, vcc_lo
	v_cmp_gt_f32_e32 vcc_lo, v34, v19
	s_addc_u32 s0, s9, s10
	s_addc_u32 s6, s12, 0
	s_add_u32 s0, s0, s7
	v_cndmask_b32_e32 v19, v19, v34, vcc_lo
	v_cmp_lt_f32_e32 vcc_lo, v35, v18
	v_add_co_u32 v21, s0, s4, s0
	v_cndmask_b32_e32 v18, v18, v35, vcc_lo
	s_delay_alu instid0(VALU_DEP_4) | instskip(SKIP_1) | instid1(VALU_DEP_3)
	v_cmp_gt_f32_e32 vcc_lo, v35, v19
	v_cndmask_b32_e32 v19, v19, v35, vcc_lo
	v_cmp_lt_f32_e32 vcc_lo, v36, v18
	v_cndmask_b32_e32 v14, v18, v36, vcc_lo
	s_delay_alu instid0(VALU_DEP_3) | instskip(SKIP_1) | instid1(VALU_DEP_3)
	v_cmp_gt_f32_e32 vcc_lo, v36, v19
	v_cndmask_b32_e32 v15, v19, v36, vcc_lo
	v_cmp_lt_f32_e32 vcc_lo, v37, v14
	v_cndmask_b32_e32 v18, v14, v37, vcc_lo
	s_delay_alu instid0(VALU_DEP_3) | instskip(SKIP_2) | instid1(VALU_DEP_3)
	v_cmp_gt_f32_e32 vcc_lo, v37, v15
	v_dual_mov_b32 v14, v17 :: v_dual_cndmask_b32 v15, v15, v37
	s_waitcnt vmcnt(1)
	v_cmp_lt_f32_e32 vcc_lo, v38, v18
	v_cndmask_b32_e32 v19, v18, v38, vcc_lo
	s_delay_alu instid0(VALU_DEP_3) | instskip(SKIP_1) | instid1(VALU_DEP_3)
	v_cmp_gt_f32_e32 vcc_lo, v38, v15
	v_cndmask_b32_e32 v15, v15, v38, vcc_lo
	v_cmp_lt_f32_e32 vcc_lo, v39, v19
	s_delay_alu instid0(VALU_DEP_2)
	v_mad_u64_u32 v[17:18], null, v13, s1, v[14:15]
	v_cndmask_b32_e32 v13, v19, v39, vcc_lo
	v_cmp_gt_f32_e32 vcc_lo, v39, v15
	s_addc_u32 s1, 0, s6
	s_cmp_lg_u32 s0, 0
	s_addc_u32 s0, s5, s1
	v_cndmask_b32_e32 v14, v15, v39, vcc_lo
	v_cmp_lt_f32_e32 vcc_lo, v40, v13
	v_mad_u64_u32 v[18:19], null, v12, s18, v[16:17]
	v_cndmask_b32_e32 v13, v13, v40, vcc_lo
	s_delay_alu instid0(VALU_DEP_4) | instskip(SKIP_1) | instid1(VALU_DEP_3)
	v_cmp_gt_f32_e32 vcc_lo, v40, v14
	v_cndmask_b32_e32 v14, v14, v40, vcc_lo
	v_cmp_lt_f32_e32 vcc_lo, v41, v13
	v_cndmask_b32_e32 v13, v13, v41, vcc_lo
	s_delay_alu instid0(VALU_DEP_3) | instskip(SKIP_2) | instid1(VALU_DEP_3)
	v_cmp_gt_f32_e32 vcc_lo, v41, v14
	v_cndmask_b32_e32 v14, v14, v41, vcc_lo
	s_waitcnt vmcnt(0)
	v_cmp_lt_f32_e32 vcc_lo, v42, v13
	v_cndmask_b32_e32 v15, v13, v42, vcc_lo
	s_delay_alu instid0(VALU_DEP_3) | instskip(SKIP_1) | instid1(VALU_DEP_3)
	v_cmp_gt_f32_e32 vcc_lo, v42, v14
	v_dual_mov_b32 v13, v19 :: v_dual_cndmask_b32 v14, v14, v42
	v_cmp_lt_f32_e32 vcc_lo, v43, v15
	v_cndmask_b32_e32 v16, v15, v43, vcc_lo
	s_delay_alu instid0(VALU_DEP_3) | instskip(SKIP_1) | instid1(VALU_DEP_3)
	v_cmp_gt_f32_e32 vcc_lo, v43, v14
	v_cndmask_b32_e32 v17, v14, v43, vcc_lo
	v_cmp_lt_f32_e32 vcc_lo, v44, v16
	v_mad_u64_u32 v[14:15], null, v18, s0, 0
	v_cndmask_b32_e32 v19, v16, v44, vcc_lo
	s_delay_alu instid0(VALU_DEP_4) | instskip(SKIP_1) | instid1(VALU_DEP_3)
	v_cmp_gt_f32_e32 vcc_lo, v44, v17
	v_cndmask_b32_e32 v20, v17, v44, vcc_lo
	v_cmp_lt_f32_e32 vcc_lo, v45, v19
	v_mad_u64_u32 v[16:17], null, v12, s19, v[13:14]
	v_mul_hi_u32 v17, v18, v21
	v_cndmask_b32_e32 v12, v19, v45, vcc_lo
	v_cmp_gt_f32_e32 vcc_lo, v45, v20
	v_cndmask_b32_e32 v13, v20, v45, vcc_lo
	v_mad_u64_u32 v[19:20], null, v16, v21, 0
	v_mad_u64_u32 v[21:22], null, v16, s0, 0
	s_delay_alu instid0(VALU_DEP_3) | instskip(SKIP_2) | instid1(VALU_DEP_3)
	v_sub_f32_e32 v23, v13, v12
	v_add_co_u32 v13, vcc_lo, v17, v14
	v_add_co_ci_u32_e32 v14, vcc_lo, 0, v15, vcc_lo
	v_div_scale_f32 v17, null, 0x41f80000, 0x41f80000, v23
	s_delay_alu instid0(VALU_DEP_3) | instskip(NEXT) | instid1(VALU_DEP_3)
	v_add_co_u32 v13, vcc_lo, v13, v19
	v_add_co_ci_u32_e32 v13, vcc_lo, v14, v20, vcc_lo
	s_delay_alu instid0(VALU_DEP_3) | instskip(SKIP_1) | instid1(VALU_DEP_2)
	v_rcp_f32_e32 v24, v17
	v_add_co_ci_u32_e32 v14, vcc_lo, 0, v22, vcc_lo
	v_add_co_u32 v22, vcc_lo, v13, v21
	v_add_co_u32 v6, s0, v8, v6
	s_delay_alu instid0(VALU_DEP_3) | instskip(NEXT) | instid1(VALU_DEP_3)
	v_add_co_ci_u32_e32 v25, vcc_lo, 0, v14, vcc_lo
	v_mad_u64_u32 v[19:20], null, v22, 24, 0
	s_waitcnt_depctr 0xfff
	v_fma_f32 v13, -v17, v24, 1.0
	v_div_scale_f32 v26, vcc_lo, v23, 0x41f80000, v23
	v_add_co_ci_u32_e64 v7, s0, v9, v7, s0
	s_delay_alu instid0(VALU_DEP_3) | instskip(SKIP_2) | instid1(VALU_DEP_3)
	v_dual_fmac_f32 v24, v13, v24 :: v_dual_mov_b32 v15, v20
	v_sub_co_u32 v8, s0, v18, v19
	v_mov_b32_e32 v13, 0
	v_mul_f32_e32 v27, v26, v24
	s_delay_alu instid0(VALU_DEP_4) | instskip(SKIP_1) | instid1(VALU_DEP_3)
	v_mad_u64_u32 v[20:21], null, v25, 24, v[15:16]
	v_mov_b32_e32 v14, 0
	v_fma_f32 v15, -v17, v27, v26
	s_delay_alu instid0(VALU_DEP_3) | instskip(NEXT) | instid1(VALU_DEP_2)
	v_sub_co_ci_u32_e64 v9, s0, v16, v20, s0
	v_fmac_f32_e32 v27, v15, v24
	v_sub_co_u32 v16, s0, v8, 24
	s_delay_alu instid0(VALU_DEP_2) | instskip(NEXT) | instid1(VALU_DEP_1)
	v_fma_f32 v15, -v17, v27, v26
	v_div_fmas_f32 v15, v15, v24, v27
	v_add_co_u32 v17, vcc_lo, v22, 2
	v_add_co_ci_u32_e32 v18, vcc_lo, 0, v25, vcc_lo
	v_subrev_co_ci_u32_e64 v19, vcc_lo, 0, v9, s0
	v_cmp_lt_u32_e32 vcc_lo, 23, v16
	v_div_fixup_f32 v15, v15, 0x41f80000, v23
	v_add_co_u32 v4, s0, v6, v4
	s_delay_alu instid0(VALU_DEP_1)
	v_add_co_ci_u32_e64 v5, s0, v7, v5, s0
	v_cndmask_b32_e64 v16, 0, -1, vcc_lo
	v_cmp_lt_u32_e32 vcc_lo, 23, v8
	v_div_scale_f32 v20, null, v15, v15, 1.0
	v_add_co_u32 v4, s1, v4, v10
	v_cndmask_b32_e64 v8, 0, -1, vcc_lo
	v_cmp_eq_u32_e32 vcc_lo, 0, v19
	s_delay_alu instid0(VALU_DEP_4)
	v_rcp_f32_e32 v19, v20
	v_add_co_ci_u32_e64 v5, s1, v5, v11, s1
	s_mov_b32 s1, 0
	v_cndmask_b32_e32 v16, -1, v16, vcc_lo
	v_add_co_u32 v21, vcc_lo, v22, 1
	v_add_co_ci_u32_e32 v23, vcc_lo, 0, v25, vcc_lo
	v_cmp_eq_u32_e32 vcc_lo, 0, v9
	s_waitcnt_depctr 0xfff
	v_fma_f32 v7, -v20, v19, 1.0
	s_delay_alu instid0(VALU_DEP_1) | instskip(SKIP_1) | instid1(VALU_DEP_2)
	v_dual_cndmask_b32 v8, -1, v8 :: v_dual_fmac_f32 v19, v7, v19
	v_cmp_ne_u32_e32 vcc_lo, 0, v16
	v_cmp_ne_u32_e64 s0, 0, v8
	v_cndmask_b32_e32 v6, v23, v18, vcc_lo
	v_cndmask_b32_e32 v8, v21, v17, vcc_lo
	v_div_scale_f32 v16, vcc_lo, 1.0, v15, 1.0
	s_delay_alu instid0(VALU_DEP_3) | instskip(NEXT) | instid1(VALU_DEP_3)
	v_cndmask_b32_e64 v6, v25, v6, s0
	v_cndmask_b32_e64 v7, v22, v8, s0
	s_delay_alu instid0(VALU_DEP_3) | instskip(SKIP_1) | instid1(VALU_DEP_4)
	v_mul_f32_e32 v10, v16, v19
	v_add_co_u32 v11, s0, v4, s24
	v_mul_lo_u32 v18, v6, 24
	v_add_co_ci_u32_e64 v17, s0, s25, v5, s0
	s_delay_alu instid0(VALU_DEP_4) | instskip(SKIP_2) | instid1(VALU_DEP_3)
	v_fma_f32 v6, -v20, v10, v16
	v_mad_u64_u32 v[4:5], null, v7, 24, s[2:3]
	v_mad_u64_u32 v[8:9], null, v7, 24, v[0:1]
	v_fmac_f32_e32 v10, v6, v19
	v_add_co_u32 v6, s0, v11, 64
	v_cvt_f16_f32_e32 v11, v12
	v_add_nc_u32_e32 v5, v18, v5
	s_delay_alu instid0(VALU_DEP_4) | instskip(SKIP_2) | instid1(VALU_DEP_3)
	v_fma_f32 v16, -v20, v10, v16
	v_add_nc_u32_e32 v9, v18, v9
	v_add_co_ci_u32_e64 v7, s0, 0, v17, s0
	v_div_fmas_f32 v10, v16, v19, v10
	v_add_co_u32 v4, vcc_lo, v4, v0
	v_add_co_ci_u32_e32 v5, vcc_lo, 0, v5, vcc_lo
	v_add_co_u32 v0, vcc_lo, s2, v8
	v_add_co_ci_u32_e32 v8, vcc_lo, s3, v9, vcc_lo
	v_cvt_f16_f32_e32 v16, v15
	v_div_fixup_f32 v10, v10, v15, 1.0
	v_cmp_neq_f32_e32 vcc_lo, 0, v15
	s_mov_b64 s[2:3], 0
	s_delay_alu instid0(VALU_DEP_3) | instskip(NEXT) | instid1(VALU_DEP_3)
	v_pack_b32_f16 v11, v16, v11
	v_dual_cndmask_b32 v9, 0, v10 :: v_dual_mov_b32 v10, 0
	global_store_b32 v[4:5], v11, off
.LBB6_2:                                ; =>This Inner Loop Header: Depth=1
	s_or_b32 s0, s2, 17
	s_clause 0x1
	global_load_b64 v[15:16], v[6:7], off offset:-64
	global_load_b32 v11, v[6:7], off
	s_lshl_b64 s[4:5], s[0:1], 2
	v_lshlrev_b32_e32 v14, 16, v14
	v_add_co_u32 v17, vcc_lo, v2, s4
	v_add_co_ci_u32_e32 v18, vcc_lo, s5, v3, vcc_lo
	v_lshlrev_b32_e32 v13, 8, v13
	s_add_i32 s4, s2, 16
	s_add_i32 s5, s2, 1
	global_load_b32 v19, v[17:18], off
	v_and_b32_e32 v1, 0xff, v1
	v_and_b32_e32 v13, 0xff00, v13
	v_add_co_u32 v17, vcc_lo, v0, s2
	v_add_co_ci_u32_e32 v18, vcc_lo, s3, v8, vcc_lo
	v_add_co_u32 v6, vcc_lo, v6, 8
	v_add_co_ci_u32_e32 v7, vcc_lo, 0, v7, vcc_lo
	s_waitcnt vmcnt(1)
	v_sub_f32_e32 v11, v11, v12
	v_perm_b32 v10, v10, v14, 0x4020c0c
	s_delay_alu instid0(VALU_DEP_2) | instskip(SKIP_2) | instid1(VALU_DEP_3)
	v_fma_f32 v11, v9, v11, 0.5
	s_waitcnt vmcnt(0)
	v_sub_f32_e32 v14, v19, v12
	v_or3_b32 v1, v10, v13, v1
	v_sub_f32_e32 v10, v15, v12
	v_cvt_i32_f32_e32 v11, v11
	s_delay_alu instid0(VALU_DEP_4) | instskip(NEXT) | instid1(VALU_DEP_3)
	v_fma_f32 v14, v9, v14, 0.5
	v_fma_f32 v10, v9, v10, 0.5
	s_delay_alu instid0(VALU_DEP_2) | instskip(NEXT) | instid1(VALU_DEP_2)
	v_cvt_i32_f32_e32 v14, v14
	v_cvt_i32_f32_e32 v10, v10
	v_sub_f32_e32 v13, v16, v12
	v_lshrrev_b16 v16, 4, v11
	v_lshlrev_b16 v11, 4, v11
	v_lshrrev_b16 v20, 4, v14
	v_lshrrev_b16 v15, 4, v10
	v_and_b32_e32 v10, 15, v10
	v_fma_f32 v13, v9, v13, 0.5
	v_and_b32_e32 v16, 1, v16
	v_lshlrev_b16 v14, 12, v14
	v_and_b32_e32 v15, 1, v15
	v_or_b32_e32 v10, v11, v10
	v_cvt_i32_f32_e32 v13, v13
	v_and_b32_e32 v16, 0xffff, v16
	s_delay_alu instid0(VALU_DEP_4) | instskip(NEXT) | instid1(VALU_DEP_4)
	v_and_b32_e32 v15, 0xffff, v15
	v_and_b32_e32 v10, 0xff, v10
	s_delay_alu instid0(VALU_DEP_4)
	v_and_b32_e32 v19, 15, v13
	v_lshrrev_b16 v13, 4, v13
	v_lshlrev_b32_e32 v16, s4, v16
	v_lshlrev_b32_e32 v15, s2, v15
	s_add_u32 s2, s2, 2
	s_addc_u32 s3, s3, 0
	v_and_b32_e32 v13, 1, v13
	s_cmp_lg_u32 s2, 16
	v_or3_b32 v1, v15, v1, v16
	v_lshlrev_b16 v15, 8, v19
	s_delay_alu instid0(VALU_DEP_3) | instskip(SKIP_1) | instid1(VALU_DEP_2)
	v_and_b32_e32 v11, 0xffff, v13
	v_and_b32_e32 v13, 1, v20
	v_lshl_or_b32 v1, v11, s5, v1
	s_delay_alu instid0(VALU_DEP_2) | instskip(SKIP_1) | instid1(VALU_DEP_2)
	v_and_b32_e32 v13, 0xffff, v13
	v_or_b32_e32 v11, v14, v15
	v_lshl_or_b32 v15, v13, s0, v1
	s_delay_alu instid0(VALU_DEP_2) | instskip(SKIP_1) | instid1(VALU_DEP_3)
	v_or_b32_e32 v11, v10, v11
	v_lshrrev_b32_e32 v13, 8, v1
	v_lshrrev_b32_e32 v14, 16, v15
	;; [unrolled: 1-line block ×3, first 2 shown]
	global_store_b16 v[17:18], v11, off offset:8
	s_cbranch_scc1 .LBB6_2
; %bb.3:
	v_lshlrev_b16 v0, 8, v13
	v_and_b32_e32 v1, 0xff, v1
	v_lshlrev_b16 v2, 8, v10
	v_and_b32_e32 v3, 0xff, v14
	s_delay_alu instid0(VALU_DEP_3) | instskip(NEXT) | instid1(VALU_DEP_2)
	v_or_b32_e32 v0, v1, v0
	v_or_b32_e32 v1, v3, v2
	s_delay_alu instid0(VALU_DEP_2) | instskip(NEXT) | instid1(VALU_DEP_2)
	v_and_b32_e32 v0, 0xffff, v0
	v_lshlrev_b32_e32 v1, 16, v1
	s_delay_alu instid0(VALU_DEP_1)
	v_or_b32_e32 v0, v0, v1
	global_store_b32 v[4:5], v0, off offset:4
.LBB6_4:
	s_nop 0
	s_sendmsg sendmsg(MSG_DEALLOC_VGPRS)
	s_endpgm
	.section	.rodata,"a",@progbits
	.p2align	6, 0x0
	.amdhsa_kernel _ZL16k_set_rows_quantIl10block_q5_1Li32ETnPFvPKfPT0_EXadL_ZL23quantize_f32_q5_1_blockS2_PS0_EEEvS2_PKT_S4_llllllllllllll15HIP_vector_typeIjLj3EESC_SC_SC_SC_
		.amdhsa_group_segment_fixed_size 0
		.amdhsa_private_segment_fixed_size 0
		.amdhsa_kernarg_size 456
		.amdhsa_user_sgpr_count 15
		.amdhsa_user_sgpr_dispatch_ptr 0
		.amdhsa_user_sgpr_queue_ptr 0
		.amdhsa_user_sgpr_kernarg_segment_ptr 1
		.amdhsa_user_sgpr_dispatch_id 0
		.amdhsa_user_sgpr_private_segment_size 0
		.amdhsa_wavefront_size32 1
		.amdhsa_uses_dynamic_stack 0
		.amdhsa_enable_private_segment 0
		.amdhsa_system_sgpr_workgroup_id_x 1
		.amdhsa_system_sgpr_workgroup_id_y 0
		.amdhsa_system_sgpr_workgroup_id_z 0
		.amdhsa_system_sgpr_workgroup_info 0
		.amdhsa_system_vgpr_workitem_id 0
		.amdhsa_next_free_vgpr 49
		.amdhsa_next_free_sgpr 32
		.amdhsa_reserve_vcc 1
		.amdhsa_float_round_mode_32 0
		.amdhsa_float_round_mode_16_64 0
		.amdhsa_float_denorm_mode_32 3
		.amdhsa_float_denorm_mode_16_64 3
		.amdhsa_dx10_clamp 1
		.amdhsa_ieee_mode 1
		.amdhsa_fp16_overflow 0
		.amdhsa_workgroup_processor_mode 1
		.amdhsa_memory_ordered 1
		.amdhsa_forward_progress 0
		.amdhsa_shared_vgpr_count 0
		.amdhsa_exception_fp_ieee_invalid_op 0
		.amdhsa_exception_fp_denorm_src 0
		.amdhsa_exception_fp_ieee_div_zero 0
		.amdhsa_exception_fp_ieee_overflow 0
		.amdhsa_exception_fp_ieee_underflow 0
		.amdhsa_exception_fp_ieee_inexact 0
		.amdhsa_exception_int_div_zero 0
	.end_amdhsa_kernel
	.section	.text._ZL16k_set_rows_quantIl10block_q5_1Li32ETnPFvPKfPT0_EXadL_ZL23quantize_f32_q5_1_blockS2_PS0_EEEvS2_PKT_S4_llllllllllllll15HIP_vector_typeIjLj3EESC_SC_SC_SC_,"axG",@progbits,_ZL16k_set_rows_quantIl10block_q5_1Li32ETnPFvPKfPT0_EXadL_ZL23quantize_f32_q5_1_blockS2_PS0_EEEvS2_PKT_S4_llllllllllllll15HIP_vector_typeIjLj3EESC_SC_SC_SC_,comdat
.Lfunc_end6:
	.size	_ZL16k_set_rows_quantIl10block_q5_1Li32ETnPFvPKfPT0_EXadL_ZL23quantize_f32_q5_1_blockS2_PS0_EEEvS2_PKT_S4_llllllllllllll15HIP_vector_typeIjLj3EESC_SC_SC_SC_, .Lfunc_end6-_ZL16k_set_rows_quantIl10block_q5_1Li32ETnPFvPKfPT0_EXadL_ZL23quantize_f32_q5_1_blockS2_PS0_EEEvS2_PKT_S4_llllllllllllll15HIP_vector_typeIjLj3EESC_SC_SC_SC_
                                        ; -- End function
	.section	.AMDGPU.csdata,"",@progbits
; Kernel info:
; codeLenInByte = 2732
; NumSgprs: 34
; NumVgprs: 49
; ScratchSize: 0
; MemoryBound: 0
; FloatMode: 240
; IeeeMode: 1
; LDSByteSize: 0 bytes/workgroup (compile time only)
; SGPRBlocks: 4
; VGPRBlocks: 6
; NumSGPRsForWavesPerEU: 34
; NumVGPRsForWavesPerEU: 49
; Occupancy: 16
; WaveLimiterHint : 1
; COMPUTE_PGM_RSRC2:SCRATCH_EN: 0
; COMPUTE_PGM_RSRC2:USER_SGPR: 15
; COMPUTE_PGM_RSRC2:TRAP_HANDLER: 0
; COMPUTE_PGM_RSRC2:TGID_X_EN: 1
; COMPUTE_PGM_RSRC2:TGID_Y_EN: 0
; COMPUTE_PGM_RSRC2:TGID_Z_EN: 0
; COMPUTE_PGM_RSRC2:TIDIG_COMP_CNT: 0
	.section	.text._ZL16k_set_rows_quantIl10block_q8_0Li32ETnPFvPKfPT0_EXadL_ZL23quantize_f32_q8_0_blockS2_PS0_EEEvS2_PKT_S4_llllllllllllll15HIP_vector_typeIjLj3EESC_SC_SC_SC_,"axG",@progbits,_ZL16k_set_rows_quantIl10block_q8_0Li32ETnPFvPKfPT0_EXadL_ZL23quantize_f32_q8_0_blockS2_PS0_EEEvS2_PKT_S4_llllllllllllll15HIP_vector_typeIjLj3EESC_SC_SC_SC_,comdat
	.globl	_ZL16k_set_rows_quantIl10block_q8_0Li32ETnPFvPKfPT0_EXadL_ZL23quantize_f32_q8_0_blockS2_PS0_EEEvS2_PKT_S4_llllllllllllll15HIP_vector_typeIjLj3EESC_SC_SC_SC_ ; -- Begin function _ZL16k_set_rows_quantIl10block_q8_0Li32ETnPFvPKfPT0_EXadL_ZL23quantize_f32_q8_0_blockS2_PS0_EEEvS2_PKT_S4_llllllllllllll15HIP_vector_typeIjLj3EESC_SC_SC_SC_
	.p2align	8
	.type	_ZL16k_set_rows_quantIl10block_q8_0Li32ETnPFvPKfPT0_EXadL_ZL23quantize_f32_q8_0_blockS2_PS0_EEEvS2_PKT_S4_llllllllllllll15HIP_vector_typeIjLj3EESC_SC_SC_SC_,@function
_ZL16k_set_rows_quantIl10block_q8_0Li32ETnPFvPKfPT0_EXadL_ZL23quantize_f32_q8_0_blockS2_PS0_EEEvS2_PKT_S4_llllllllllllll15HIP_vector_typeIjLj3EESC_SC_SC_SC_: ; @_ZL16k_set_rows_quantIl10block_q8_0Li32ETnPFvPKfPT0_EXadL_ZL23quantize_f32_q8_0_blockS2_PS0_EEEvS2_PKT_S4_llllllllllllll15HIP_vector_typeIjLj3EESC_SC_SC_SC_
; %bb.0:
	s_clause 0x1
	s_load_b32 s4, s[0:1], 0xd4
	s_load_b64 s[2:3], s[0:1], 0x18
	v_mov_b32_e32 v1, 0
	s_waitcnt lgkmcnt(0)
	s_and_b32 s4, s4, 0xffff
	s_delay_alu instid0(VALU_DEP_1) | instid1(SALU_CYCLE_1)
	v_mad_u64_u32 v[2:3], null, s4, s15, v[0:1]
	s_delay_alu instid0(VALU_DEP_1)
	v_cmp_gt_i64_e32 vcc_lo, s[2:3], v[2:3]
	s_and_saveexec_b32 s2, vcc_lo
	s_cbranch_execz .LBB7_2
; %bb.1:
	s_load_b256 s[36:43], s[0:1], 0x88
	v_lshlrev_b32_e32 v0, 5, v2
	s_clause 0x2
	s_load_b128 s[24:27], s[0:1], 0xa8
	s_load_b512 s[4:19], s[0:1], 0x40
	s_load_b64 s[28:29], s[0:1], 0xb8
	s_waitcnt lgkmcnt(0)
	v_mul_hi_u32 v2, s36, v0
	s_delay_alu instid0(VALU_DEP_1) | instskip(NEXT) | instid1(VALU_DEP_1)
	v_add_nc_u32_e32 v2, v0, v2
	v_lshrrev_b32_e32 v2, s37, v2
	s_delay_alu instid0(VALU_DEP_1) | instskip(SKIP_1) | instid1(VALU_DEP_2)
	v_mul_hi_u32 v3, v2, s39
	v_mul_lo_u32 v4, v2, s38
	v_add_nc_u32_e32 v3, v2, v3
	s_delay_alu instid0(VALU_DEP_2) | instskip(NEXT) | instid1(VALU_DEP_2)
	v_sub_nc_u32_e32 v0, v0, v4
	v_lshrrev_b32_e32 v6, s40, v3
	s_delay_alu instid0(VALU_DEP_1) | instskip(SKIP_1) | instid1(VALU_DEP_2)
	v_mul_hi_u32 v3, v6, s42
	v_mul_lo_u32 v5, v6, s41
	v_add_nc_u32_e32 v3, v6, v3
	s_delay_alu instid0(VALU_DEP_2) | instskip(SKIP_1) | instid1(VALU_DEP_3)
	v_sub_nc_u32_e32 v16, v2, v5
	v_lshlrev_b64 v[4:5], 2, v[0:1]
	v_lshrrev_b32_e32 v37, s43, v3
	s_delay_alu instid0(VALU_DEP_3) | instskip(SKIP_1) | instid1(VALU_DEP_3)
	v_mad_u64_u32 v[2:3], null, v16, s4, 0
	v_mad_u64_u32 v[8:9], null, v16, s10, 0
	v_mul_lo_u32 v7, v37, s24
	v_mul_hi_u32 v10, v37, s28
	s_clause 0x3
	s_load_b128 s[20:23], s[0:1], 0x0
	s_load_b64 s[2:3], s[0:1], 0x10
	s_load_b32 s24, s[0:1], 0xc0
	s_load_b64 s[0:1], s[0:1], 0x80
	v_mov_b32_e32 v1, v3
	s_add_u32 s4, 0, 0x87870380
	v_sub_nc_u32_e32 v40, v6, v7
	v_mad_u64_u32 v[6:7], null, v37, s8, 0
	v_add_nc_u32_e32 v15, v37, v10
	v_mad_u64_u32 v[12:13], null, v16, s5, v[1:2]
	s_delay_alu instid0(VALU_DEP_4)
	v_mul_hi_u32 v14, v40, s25
	v_mad_u64_u32 v[10:11], null, v40, s6, 0
	v_mov_b32_e32 v3, v7
	v_lshrrev_b32_e32 v7, s29, v15
	s_addc_u32 s5, 0, 31
	s_mul_i32 s6, s4, 0xffffffde
	s_add_i32 s5, s5, 0x7878768
	s_delay_alu instid0(VALU_DEP_4) | instskip(NEXT) | instid1(VALU_DEP_4)
	v_add_nc_u32_e32 v15, v40, v14
	v_mov_b32_e32 v1, v11
	v_mad_u64_u32 v[13:14], null, v37, s9, v[3:4]
	v_mov_b32_e32 v3, v12
	s_delay_alu instid0(VALU_DEP_4) | instskip(NEXT) | instid1(VALU_DEP_4)
	v_lshrrev_b32_e32 v11, s26, v15
	v_mad_u64_u32 v[14:15], null, v40, s7, v[1:2]
	s_waitcnt lgkmcnt(0)
	v_mul_lo_u32 v17, v7, s24
	v_lshlrev_b64 v[1:2], 2, v[2:3]
	v_mul_lo_u32 v15, v11, s27
	v_mov_b32_e32 v7, v13
	v_mad_u64_u32 v[12:13], null, v16, s11, v[9:10]
	v_mov_b32_e32 v11, v14
	s_mul_hi_u32 s7, s4, 0xffffffde
	v_sub_nc_u32_e32 v13, v37, v17
	v_lshlrev_b64 v[6:7], 2, v[6:7]
	v_sub_nc_u32_e32 v3, v40, v15
	v_lshlrev_b64 v[9:10], 2, v[10:11]
	v_add_co_u32 v11, vcc_lo, s20, v1
	v_add_co_ci_u32_e32 v2, vcc_lo, s21, v2, vcc_lo
	s_delay_alu instid0(VALU_DEP_4) | instskip(NEXT) | instid1(VALU_DEP_3)
	v_mad_u64_u32 v[21:22], null, v3, s12, 0
	v_add_co_u32 v9, vcc_lo, v11, v9
	s_delay_alu instid0(VALU_DEP_3) | instskip(SKIP_1) | instid1(VALU_DEP_4)
	v_add_co_ci_u32_e32 v10, vcc_lo, v2, v10, vcc_lo
	v_mad_u64_u32 v[19:20], null, v13, s14, 0
	v_mov_b32_e32 v2, v22
	s_delay_alu instid0(VALU_DEP_4) | instskip(NEXT) | instid1(VALU_DEP_4)
	v_add_co_u32 v9, vcc_lo, v9, v6
	v_add_co_ci_u32_e32 v10, vcc_lo, v10, v7, vcc_lo
	s_delay_alu instid0(VALU_DEP_3) | instskip(NEXT) | instid1(VALU_DEP_3)
	v_mad_u64_u32 v[6:7], null, v3, s13, v[2:3]
	v_add_co_u32 v2, vcc_lo, v9, v4
	v_mov_b32_e32 v1, v20
	s_delay_alu instid0(VALU_DEP_4) | instskip(NEXT) | instid1(VALU_DEP_4)
	v_add_co_ci_u32_e32 v3, vcc_lo, v10, v5, vcc_lo
	v_dual_mov_b32 v9, v12 :: v_dual_mov_b32 v22, v6
	s_delay_alu instid0(VALU_DEP_3)
	v_mad_u64_u32 v[4:5], null, v13, s15, v[1:2]
	s_clause 0x1
	global_load_b128 v[11:14], v[2:3], off
	global_load_b128 v[15:18], v[2:3], off offset:16
	v_lshlrev_b64 v[5:6], 3, v[8:9]
	v_lshlrev_b64 v[7:8], 3, v[21:22]
	s_sub_i32 s7, s7, s4
	s_mul_i32 s9, s5, 0xffffffde
	v_mov_b32_e32 v20, v4
	s_add_i32 s7, s7, s9
	v_add_co_u32 v1, vcc_lo, s22, v5
	v_add_co_ci_u32_e32 v6, vcc_lo, s23, v6, vcc_lo
	s_delay_alu instid0(VALU_DEP_3) | instskip(SKIP_4) | instid1(VALU_DEP_2)
	v_lshlrev_b64 v[4:5], 3, v[19:20]
	global_load_b128 v[19:22], v[2:3], off offset:32
	v_add_co_u32 v1, vcc_lo, v1, v7
	v_add_co_ci_u32_e32 v6, vcc_lo, v6, v8, vcc_lo
	s_mul_i32 s10, s4, s7
	v_add_co_u32 v4, vcc_lo, v1, v4
	s_delay_alu instid0(VALU_DEP_2)
	v_add_co_ci_u32_e32 v5, vcc_lo, v6, v5, vcc_lo
	global_load_b64 v[9:10], v[4:5], off
	s_clause 0x4
	global_load_b128 v[23:26], v[2:3], off offset:48
	global_load_b128 v[27:30], v[2:3], off offset:64
	;; [unrolled: 1-line block ×5, first 2 shown]
	s_mul_hi_u32 s9, s4, s7
	s_mul_hi_u32 s8, s5, s6
	;; [unrolled: 1-line block ×3, first 2 shown]
	s_waitcnt vmcnt(8)
	v_max3_f32 v35, |v11|, 0, |v12|
	s_delay_alu instid0(VALU_DEP_1) | instskip(SKIP_1) | instid1(VALU_DEP_1)
	v_max3_f32 v35, v35, |v13|, |v14|
	s_waitcnt vmcnt(7)
	v_max3_f32 v35, v35, |v15|, |v16|
	s_delay_alu instid0(VALU_DEP_1) | instskip(SKIP_1) | instid1(VALU_DEP_1)
	v_max3_f32 v35, v35, |v17|, |v18|
	s_waitcnt vmcnt(6)
	v_max3_f32 v35, v35, |v19|, |v20|
	s_waitcnt vmcnt(5)
	v_mul_lo_u32 v39, v9, s17
	v_mul_lo_u32 v10, v10, s16
	s_delay_alu instid0(VALU_DEP_3) | instskip(SKIP_2) | instid1(VALU_DEP_2)
	v_max3_f32 v38, v35, |v21|, |v22|
	v_mad_u64_u32 v[35:36], null, v9, s16, 0
	s_waitcnt vmcnt(4)
	v_max3_f32 v9, v38, |v23|, |v24|
	s_delay_alu instid0(VALU_DEP_2) | instskip(NEXT) | instid1(VALU_DEP_2)
	v_add3_u32 v36, v36, v39, v10
	v_max3_f32 v9, v9, |v25|, |v26|
	s_waitcnt vmcnt(3)
	s_delay_alu instid0(VALU_DEP_1) | instskip(NEXT) | instid1(VALU_DEP_3)
	v_max3_f32 v38, v9, |v27|, |v28|
	v_mad_u64_u32 v[9:10], null, v37, s0, v[35:36]
	s_mul_hi_u32 s0, s4, s6
	s_mul_i32 s6, s5, s6
	s_delay_alu instid0(VALU_DEP_2) | instskip(SKIP_2) | instid1(VALU_DEP_1)
	v_max3_f32 v35, v38, |v29|, |v30|
	s_add_u32 s0, s0, s10
	s_waitcnt vmcnt(2)
	v_max3_f32 v38, v35, |v31|, |v32|
	s_delay_alu instid0(VALU_DEP_3) | instskip(SKIP_2) | instid1(VALU_DEP_2)
	v_mad_u64_u32 v[35:36], null, v37, s1, v[10:11]
	s_mul_i32 s1, s5, s7
	s_addc_u32 s7, 0, s9
	v_max3_f32 v10, v38, |v33|, |v34|
	s_add_u32 s0, s0, s6
	s_addc_u32 s0, s7, s8
	s_addc_u32 s6, s11, 0
	s_add_u32 s0, s0, s1
	s_waitcnt vmcnt(1)
	v_max3_f32 v36, v10, |v5|, |v6|
	v_mov_b32_e32 v10, v35
	v_add_co_u32 v41, s0, s4, s0
	s_addc_u32 s1, 0, s6
	s_delay_alu instid0(VALU_DEP_3) | instskip(NEXT) | instid1(VALU_DEP_3)
	v_max3_f32 v37, v36, |v7|, |v8|
	v_mad_u64_u32 v[35:36], null, v40, s18, v[9:10]
	s_cmp_lg_u32 s0, 0
	s_waitcnt vmcnt(0)
	s_delay_alu instid0(VALU_DEP_2) | instskip(SKIP_1) | instid1(VALU_DEP_2)
	v_max3_f32 v10, v37, |v1|, |v2|
	s_addc_u32 s1, s5, s1
	v_mov_b32_e32 v9, v36
	s_delay_alu instid0(VALU_DEP_2) | instskip(NEXT) | instid1(VALU_DEP_4)
	v_max3_f32 v42, v10, |v3|, |v4|
	v_mad_u64_u32 v[36:37], null, v35, s1, 0
	s_delay_alu instid0(VALU_DEP_3) | instskip(NEXT) | instid1(VALU_DEP_3)
	v_mad_u64_u32 v[38:39], null, v40, s19, v[9:10]
	v_div_scale_f32 v43, null, 0x42fe0000, 0x42fe0000, v42
	v_mul_hi_u32 v39, v35, v41
	v_div_scale_f32 v44, s0, v42, 0x42fe0000, v42
	s_delay_alu instid0(VALU_DEP_3) | instskip(NEXT) | instid1(VALU_DEP_4)
	v_rcp_f32_e32 v45, v43
	v_mad_u64_u32 v[9:10], null, v38, v41, 0
	s_delay_alu instid0(VALU_DEP_3) | instskip(SKIP_2) | instid1(VALU_DEP_3)
	v_add_co_u32 v36, vcc_lo, v39, v36
	v_add_co_ci_u32_e32 v37, vcc_lo, 0, v37, vcc_lo
	v_mad_u64_u32 v[39:40], null, v38, s1, 0
	v_add_co_u32 v9, vcc_lo, v36, v9
	s_waitcnt_depctr 0xfff
	v_fma_f32 v9, -v43, v45, 1.0
	v_add_co_ci_u32_e32 v10, vcc_lo, v37, v10, vcc_lo
	v_add_co_ci_u32_e32 v36, vcc_lo, 0, v40, vcc_lo
	s_delay_alu instid0(VALU_DEP_3) | instskip(NEXT) | instid1(VALU_DEP_3)
	v_fmac_f32_e32 v45, v9, v45
	v_add_co_u32 v39, vcc_lo, v10, v39
	s_delay_alu instid0(VALU_DEP_3) | instskip(NEXT) | instid1(VALU_DEP_3)
	v_add_co_ci_u32_e32 v40, vcc_lo, 0, v36, vcc_lo
	v_mul_f32_e32 v41, v44, v45
	s_delay_alu instid0(VALU_DEP_3) | instskip(NEXT) | instid1(VALU_DEP_2)
	v_mad_u64_u32 v[9:10], null, v39, 34, 0
	v_fma_f32 v36, -v43, v41, v44
	s_delay_alu instid0(VALU_DEP_1) | instskip(NEXT) | instid1(VALU_DEP_3)
	v_fmac_f32_e32 v41, v36, v45
	v_mad_u64_u32 v[36:37], null, v40, 34, v[10:11]
	v_add_co_u32 v37, vcc_lo, v39, 2
	s_delay_alu instid0(VALU_DEP_3) | instskip(SKIP_2) | instid1(VALU_DEP_2)
	v_fma_f32 v10, -v43, v41, v44
	v_add_co_ci_u32_e32 v43, vcc_lo, 0, v40, vcc_lo
	s_mov_b32 vcc_lo, s0
	v_div_fmas_f32 v10, v10, v45, v41
	v_sub_co_u32 v9, vcc_lo, v35, v9
	v_sub_co_ci_u32_e32 v35, vcc_lo, v38, v36, vcc_lo
	s_delay_alu instid0(VALU_DEP_3) | instskip(NEXT) | instid1(VALU_DEP_3)
	v_div_fixup_f32 v10, v10, 0x42fe0000, v42
	v_sub_co_u32 v36, vcc_lo, v9, 34
	s_delay_alu instid0(VALU_DEP_3) | instskip(NEXT) | instid1(VALU_DEP_3)
	v_subrev_co_ci_u32_e32 v38, vcc_lo, 0, v35, vcc_lo
	v_div_scale_f32 v41, null, v10, v10, 1.0
	s_delay_alu instid0(VALU_DEP_3) | instskip(SKIP_1) | instid1(VALU_DEP_3)
	v_cmp_lt_u32_e32 vcc_lo, 33, v36
	v_div_scale_f32 v45, s0, 1.0, v10, 1.0
	v_rcp_f32_e32 v42, v41
	v_cndmask_b32_e64 v36, 0, -1, vcc_lo
	v_cmp_lt_u32_e32 vcc_lo, 33, v9
	v_cndmask_b32_e64 v9, 0, -1, vcc_lo
	v_cmp_eq_u32_e32 vcc_lo, 0, v38
	s_delay_alu instid0(VALU_DEP_4) | instskip(SKIP_3) | instid1(TRANS32_DEP_1)
	v_cndmask_b32_e32 v36, -1, v36, vcc_lo
	v_add_co_u32 v38, vcc_lo, v39, 1
	v_add_co_ci_u32_e32 v44, vcc_lo, 0, v40, vcc_lo
	v_cmp_eq_u32_e32 vcc_lo, 0, v35
	v_fma_f32 v35, -v41, v42, 1.0
	v_cndmask_b32_e32 v9, -1, v9, vcc_lo
	v_cmp_ne_u32_e32 vcc_lo, 0, v36
	s_delay_alu instid0(VALU_DEP_3) | instskip(SKIP_1) | instid1(VALU_DEP_4)
	v_fmac_f32_e32 v42, v35, v42
	v_dual_cndmask_b32 v36, v44, v43 :: v_dual_cndmask_b32 v37, v38, v37
	v_cmp_ne_u32_e32 vcc_lo, 0, v9
	s_delay_alu instid0(VALU_DEP_2) | instskip(NEXT) | instid1(VALU_DEP_3)
	v_cndmask_b32_e32 v9, v39, v37, vcc_lo
	v_dual_mul_f32 v39, v45, v42 :: v_dual_cndmask_b32 v38, v40, v36
	s_mov_b32 vcc_lo, s0
	s_delay_alu instid0(VALU_DEP_2) | instskip(NEXT) | instid1(VALU_DEP_2)
	v_mad_u64_u32 v[35:36], null, v9, 34, s[2:3]
	v_fma_f32 v9, -v41, v39, v45
	s_delay_alu instid0(VALU_DEP_1) | instskip(NEXT) | instid1(VALU_DEP_3)
	v_fmac_f32_e32 v39, v9, v42
	v_mov_b32_e32 v9, v36
	s_delay_alu instid0(VALU_DEP_2) | instskip(NEXT) | instid1(VALU_DEP_2)
	v_fma_f32 v40, -v41, v39, v45
	v_mad_u64_u32 v[36:37], null, v38, 34, v[9:10]
	v_lshrrev_b32_e32 v37, 5, v0
	v_cvt_f16_f32_e32 v0, v10
	s_delay_alu instid0(VALU_DEP_4) | instskip(SKIP_1) | instid1(VALU_DEP_2)
	v_div_fmas_f32 v9, v40, v42, v39
	v_cmp_neq_f32_e32 vcc_lo, 0, v10
	v_div_fixup_f32 v9, v9, v10, 1.0
	s_delay_alu instid0(VALU_DEP_1) | instskip(SKIP_1) | instid1(VALU_DEP_2)
	v_cndmask_b32_e32 v38, 0, v9, vcc_lo
	v_mad_u64_u32 v[9:10], null, v37, 34, v[35:36]
	v_mul_f32_e32 v30, v30, v38
	v_mul_f32_e32 v20, v20, v38
	;; [unrolled: 1-line block ×6, first 2 shown]
	v_trunc_f32_e32 v44, v20
	v_mul_f32_e32 v11, v11, v38
	v_trunc_f32_e32 v36, v12
	v_trunc_f32_e32 v48, v24
	s_delay_alu instid0(VALU_DEP_4) | instskip(NEXT) | instid1(VALU_DEP_4)
	v_dual_mul_f32 v13, v13, v38 :: v_dual_sub_f32 v76, v20, v44
	v_trunc_f32_e32 v35, v11
	v_mul_f32_e32 v28, v28, v38
	v_sub_f32_e32 v68, v12, v36
	v_sub_f32_e32 v80, v24, v48
	v_trunc_f32_e32 v37, v13
	v_dual_sub_f32 v67, v11, v35 :: v_dual_mul_f32 v32, v32, v38
	v_mul_f32_e32 v3, v3, v38
	v_trunc_f32_e32 v52, v28
	v_mul_f32_e32 v15, v15, v38
	s_delay_alu instid0(VALU_DEP_4) | instskip(SKIP_3) | instid1(VALU_DEP_4)
	v_cmp_ge_f32_e64 s0, |v67|, 0.5
	v_sub_f32_e32 v69, v13, v37
	v_trunc_f32_e32 v56, v32
	v_dual_sub_f32 v84, v28, v52 :: v_dual_mul_f32 v17, v17, v38
	v_cndmask_b32_e64 v67, 0, 1.0, s0
	v_cmp_ge_f32_e64 s0, |v68|, 0.5
	s_delay_alu instid0(VALU_DEP_4)
	v_sub_f32_e32 v88, v32, v56
	v_mul_f32_e32 v18, v18, v38
	v_mul_f32_e32 v22, v22, v38
	;; [unrolled: 1-line block ×3, first 2 shown]
	v_cndmask_b32_e64 v68, 0, 1.0, s0
	v_mul_f32_e32 v29, v29, v38
	v_mul_f32_e32 v31, v31, v38
	;; [unrolled: 1-line block ×4, first 2 shown]
	v_bfi_b32 v12, 0x7fffffff, v68, v12
	v_mul_f32_e32 v23, v23, v38
	v_trunc_f32_e32 v39, v15
	v_mul_f32_e32 v34, v34, v38
	v_trunc_f32_e32 v40, v16
	v_add_f32_e32 v12, v36, v12
	v_trunc_f32_e32 v47, v23
	v_dual_sub_f32 v71, v15, v39 :: v_dual_mul_f32 v4, v4, v38
	v_mul_f32_e32 v27, v27, v38
	v_trunc_f32_e32 v41, v17
	s_delay_alu instid0(VALU_DEP_4) | instskip(NEXT) | instid1(VALU_DEP_4)
	v_dual_sub_f32 v79, v23, v47 :: v_dual_mul_f32 v6, v6, v38
	v_trunc_f32_e32 v66, v4
	v_mul_f32_e32 v1, v1, v38
	v_trunc_f32_e32 v65, v3
	v_mul_f32_e32 v25, v25, v38
	v_cmp_ge_f32_e64 s0, |v69|, 0.5
	v_sub_f32_e32 v72, v16, v40
	v_trunc_f32_e32 v63, v1
	v_mul_f32_e32 v19, v19, v38
	v_mul_f32_e32 v8, v8, v38
	v_cndmask_b32_e64 v69, 0, 1.0, s0
	v_trunc_f32_e32 v42, v18
	v_sub_f32_e32 v73, v17, v41
	v_trunc_f32_e32 v46, v22
	v_trunc_f32_e32 v62, v8
	v_mul_f32_e32 v7, v7, v38
	v_trunc_f32_e32 v50, v26
	v_trunc_f32_e32 v54, v30
	;; [unrolled: 1-line block ×5, first 2 shown]
	v_mul_f32_e32 v21, v21, v38
	v_bfi_b32 v13, 0x7fffffff, v69, v13
	v_bfi_b32 v11, 0x7fffffff, v67, v11
	s_delay_alu instid0(VALU_DEP_4) | instskip(NEXT) | instid1(VALU_DEP_4)
	v_dual_sub_f32 v67, v6, v60 :: v_dual_sub_f32 v68, v7, v61
	v_trunc_f32_e32 v45, v21
	v_mul_f32_e32 v2, v2, v38
	v_trunc_f32_e32 v38, v14
	v_cvt_i32_f32_e32 v12, v12
	s_delay_alu instid0(VALU_DEP_4) | instskip(NEXT) | instid1(VALU_DEP_4)
	v_sub_f32_e32 v77, v21, v45
	v_trunc_f32_e32 v64, v2
	s_delay_alu instid0(VALU_DEP_4) | instskip(NEXT) | instid1(VALU_DEP_4)
	v_sub_f32_e32 v70, v14, v38
	v_lshlrev_b16 v12, 8, v12
	s_delay_alu instid0(VALU_DEP_2) | instskip(NEXT) | instid1(VALU_DEP_1)
	v_cmp_ge_f32_e64 s0, |v70|, 0.5
	v_cndmask_b32_e64 v70, 0, 1.0, s0
	v_cmp_ge_f32_e64 s0, |v71|, 0.5
	s_delay_alu instid0(VALU_DEP_2) | instskip(NEXT) | instid1(VALU_DEP_2)
	v_bfi_b32 v14, 0x7fffffff, v70, v14
	v_cndmask_b32_e64 v71, 0, 1.0, s0
	v_cmp_ge_f32_e64 s0, |v72|, 0.5
	v_sub_f32_e32 v70, v1, v63
	v_trunc_f32_e32 v43, v19
	v_dual_add_f32 v11, v35, v11 :: v_dual_add_f32 v14, v38, v14
	s_delay_alu instid0(VALU_DEP_4) | instskip(SKIP_1) | instid1(VALU_DEP_4)
	v_cndmask_b32_e64 v72, 0, 1.0, s0
	v_cmp_ge_f32_e64 s0, |v73|, 0.5
	v_sub_f32_e32 v75, v19, v43
	v_bfi_b32 v15, 0x7fffffff, v71, v15
	v_sub_f32_e32 v71, v2, v64
	v_bfi_b32 v16, 0x7fffffff, v72, v16
	v_cndmask_b32_e64 v73, 0, 1.0, s0
	v_sub_f32_e32 v72, v3, v65
	v_trunc_f32_e32 v49, v25
	v_cvt_i32_f32_e32 v11, v11
	v_add_f32_e32 v16, v40, v16
	v_trunc_f32_e32 v51, v27
	s_delay_alu instid0(VALU_DEP_4) | instskip(SKIP_1) | instid1(VALU_DEP_4)
	v_dual_sub_f32 v74, v18, v42 :: v_dual_sub_f32 v81, v25, v49
	v_bfi_b32 v17, 0x7fffffff, v73, v17
	v_cvt_i32_f32_e32 v16, v16
	s_delay_alu instid0(VALU_DEP_4) | instskip(NEXT) | instid1(VALU_DEP_4)
	v_sub_f32_e32 v83, v27, v51
	v_cmp_ge_f32_e64 s0, |v74|, 0.5
	v_cvt_i32_f32_e32 v14, v14
	v_and_b32_e32 v11, 0xff, v11
	v_lshlrev_b16 v16, 8, v16
	s_delay_alu instid0(VALU_DEP_4) | instskip(SKIP_3) | instid1(VALU_DEP_4)
	v_cndmask_b32_e64 v74, 0, 1.0, s0
	v_cmp_ge_f32_e64 s0, |v75|, 0.5
	v_lshlrev_b16 v14, 8, v14
	v_or_b32_e32 v11, v11, v12
	v_bfi_b32 v18, 0x7fffffff, v74, v18
	s_delay_alu instid0(VALU_DEP_4) | instskip(SKIP_2) | instid1(VALU_DEP_4)
	v_cndmask_b32_e64 v75, 0, 1.0, s0
	v_cmp_ge_f32_e64 s0, |v76|, 0.5
	v_add_f32_e32 v13, v37, v13
	v_dual_add_f32 v18, v42, v18 :: v_dual_and_b32 v11, 0xffff, v11
	s_delay_alu instid0(VALU_DEP_4) | instskip(NEXT) | instid1(VALU_DEP_4)
	v_bfi_b32 v19, 0x7fffffff, v75, v19
	v_cndmask_b32_e64 v76, 0, 1.0, s0
	v_cmp_ge_f32_e64 s0, |v77|, 0.5
	v_cvt_i32_f32_e32 v13, v13
	v_cvt_i32_f32_e32 v18, v18
	s_delay_alu instid0(VALU_DEP_4) | instskip(NEXT) | instid1(VALU_DEP_4)
	v_bfi_b32 v20, 0x7fffffff, v76, v20
	v_cndmask_b32_e64 v77, 0, 1.0, s0
	s_delay_alu instid0(VALU_DEP_4) | instskip(NEXT) | instid1(VALU_DEP_4)
	v_and_b32_e32 v13, 0xff, v13
	v_lshlrev_b16 v18, 8, v18
	s_delay_alu instid0(VALU_DEP_4)
	v_add_f32_e32 v20, v44, v20
	v_trunc_f32_e32 v53, v29
	v_sub_f32_e32 v78, v22, v46
	v_bfi_b32 v21, 0x7fffffff, v77, v21
	v_or_b32_e32 v12, v13, v14
	v_cvt_i32_f32_e32 v20, v20
	v_sub_f32_e32 v85, v29, v53
	v_cmp_ge_f32_e64 s0, |v78|, 0.5
	s_delay_alu instid0(VALU_DEP_4) | instskip(NEXT) | instid1(VALU_DEP_4)
	v_lshlrev_b32_e32 v12, 16, v12
	v_lshlrev_b16 v20, 8, v20
	s_delay_alu instid0(VALU_DEP_3) | instskip(SKIP_1) | instid1(VALU_DEP_2)
	v_cndmask_b32_e64 v78, 0, 1.0, s0
	v_cmp_ge_f32_e64 s0, |v79|, 0.5
	v_bfi_b32 v22, 0x7fffffff, v78, v22
	s_delay_alu instid0(VALU_DEP_2) | instskip(SKIP_1) | instid1(VALU_DEP_3)
	v_cndmask_b32_e64 v79, 0, 1.0, s0
	v_cmp_ge_f32_e64 s0, |v80|, 0.5
	v_dual_add_f32 v15, v39, v15 :: v_dual_add_f32 v22, v46, v22
	s_delay_alu instid0(VALU_DEP_3) | instskip(NEXT) | instid1(VALU_DEP_3)
	v_bfi_b32 v23, 0x7fffffff, v79, v23
	v_cndmask_b32_e64 v80, 0, 1.0, s0
	v_cmp_ge_f32_e64 s0, |v81|, 0.5
	s_delay_alu instid0(VALU_DEP_4)
	v_cvt_i32_f32_e32 v15, v15
	v_cvt_i32_f32_e32 v22, v22
	v_add_f32_e32 v23, v47, v23
	v_bfi_b32 v24, 0x7fffffff, v80, v24
	v_cndmask_b32_e64 v81, 0, 1.0, s0
	v_and_b32_e32 v15, 0xff, v15
	v_lshlrev_b16 v22, 8, v22
	v_cvt_i32_f32_e32 v23, v23
	v_add_f32_e32 v24, v48, v24
	v_trunc_f32_e32 v55, v31
	v_sub_f32_e32 v82, v26, v50
	v_or_b32_e32 v15, v15, v16
	v_bfi_b32 v25, 0x7fffffff, v81, v25
	v_cvt_i32_f32_e32 v24, v24
	v_sub_f32_e32 v87, v31, v55
	v_cmp_ge_f32_e64 s0, |v82|, 0.5
	v_and_b32_e32 v23, 0xff, v23
	v_add_f32_e32 v25, v49, v25
	v_lshlrev_b16 v24, 8, v24
	v_and_b32_e32 v15, 0xffff, v15
	v_cndmask_b32_e64 v82, 0, 1.0, s0
	v_cmp_ge_f32_e64 s0, |v83|, 0.5
	v_cvt_i32_f32_e32 v25, v25
	v_or_b32_e32 v23, v23, v24
	s_delay_alu instid0(VALU_DEP_4) | instskip(NEXT) | instid1(VALU_DEP_4)
	v_bfi_b32 v26, 0x7fffffff, v82, v26
	v_cndmask_b32_e64 v83, 0, 1.0, s0
	v_cmp_ge_f32_e64 s0, |v84|, 0.5
	v_add_f32_e32 v17, v41, v17
	s_delay_alu instid0(VALU_DEP_4) | instskip(NEXT) | instid1(VALU_DEP_4)
	v_dual_add_f32 v26, v50, v26 :: v_dual_and_b32 v25, 0xff, v25
	v_bfi_b32 v27, 0x7fffffff, v83, v27
	s_delay_alu instid0(VALU_DEP_4)
	v_cndmask_b32_e64 v84, 0, 1.0, s0
	v_cmp_ge_f32_e64 s0, |v85|, 0.5
	v_cvt_i32_f32_e32 v17, v17
	v_cvt_i32_f32_e32 v26, v26
	v_and_b32_e32 v13, 0xffff, v23
	v_bfi_b32 v28, 0x7fffffff, v84, v28
	v_cndmask_b32_e64 v85, 0, 1.0, s0
	v_and_b32_e32 v17, 0xff, v17
	v_lshlrev_b16 v26, 8, v26
	s_delay_alu instid0(VALU_DEP_4)
	v_add_f32_e32 v28, v52, v28
	v_trunc_f32_e32 v57, v33
	v_sub_f32_e32 v86, v30, v54
	v_or_b32_e32 v16, v17, v18
	v_sub_f32_e32 v73, v4, v66
	v_or_b32_e32 v24, v25, v26
	v_sub_f32_e32 v89, v33, v57
	v_cmp_ge_f32_e64 s0, |v86|, 0.5
	v_lshlrev_b32_e32 v16, 16, v16
	v_bfi_b32 v29, 0x7fffffff, v85, v29
	v_lshlrev_b32_e32 v14, 16, v24
	v_cvt_i32_f32_e32 v28, v28
	v_cndmask_b32_e64 v86, 0, 1.0, s0
	v_cmp_ge_f32_e64 s0, |v87|, 0.5
	s_delay_alu instid0(VALU_DEP_3) | instskip(NEXT) | instid1(VALU_DEP_3)
	v_lshlrev_b16 v28, 8, v28
	v_bfi_b32 v30, 0x7fffffff, v86, v30
	s_delay_alu instid0(VALU_DEP_3) | instskip(SKIP_1) | instid1(VALU_DEP_3)
	v_cndmask_b32_e64 v87, 0, 1.0, s0
	v_cmp_ge_f32_e64 s0, |v88|, 0.5
	v_dual_add_f32 v19, v43, v19 :: v_dual_add_f32 v30, v54, v30
	s_delay_alu instid0(VALU_DEP_3) | instskip(NEXT) | instid1(VALU_DEP_3)
	v_bfi_b32 v31, 0x7fffffff, v87, v31
	v_cndmask_b32_e64 v88, 0, 1.0, s0
	v_cmp_ge_f32_e64 s0, |v89|, 0.5
	s_delay_alu instid0(VALU_DEP_4) | instskip(SKIP_1) | instid1(VALU_DEP_4)
	v_cvt_i32_f32_e32 v19, v19
	v_cvt_i32_f32_e32 v30, v30
	v_bfi_b32 v32, 0x7fffffff, v88, v32
	s_delay_alu instid0(VALU_DEP_4) | instskip(NEXT) | instid1(VALU_DEP_4)
	v_cndmask_b32_e64 v89, 0, 1.0, s0
	v_and_b32_e32 v19, 0xff, v19
	s_delay_alu instid0(VALU_DEP_4) | instskip(NEXT) | instid1(VALU_DEP_4)
	v_lshlrev_b16 v30, 8, v30
	v_add_f32_e32 v32, v56, v32
	v_trunc_f32_e32 v59, v5
	v_sub_f32_e32 v90, v34, v58
	v_or_b32_e32 v19, v19, v20
	v_bfi_b32 v33, 0x7fffffff, v89, v33
	v_cvt_i32_f32_e32 v32, v32
	v_sub_f32_e32 v91, v5, v59
	v_cmp_ge_f32_e64 s0, |v90|, 0.5
	v_and_b32_e32 v17, 0xffff, v19
	v_add_f32_e32 v33, v57, v33
	v_lshlrev_b16 v32, 8, v32
	s_delay_alu instid0(VALU_DEP_4) | instskip(SKIP_1) | instid1(VALU_DEP_4)
	v_cndmask_b32_e64 v90, 0, 1.0, s0
	v_cmp_ge_f32_e64 s0, |v91|, 0.5
	v_cvt_i32_f32_e32 v33, v33
	s_delay_alu instid0(VALU_DEP_3) | instskip(SKIP_1) | instid1(VALU_DEP_4)
	v_bfi_b32 v34, 0x7fffffff, v90, v34
	v_add_f32_e32 v21, v45, v21
	v_cndmask_b32_e64 v91, 0, 1.0, s0
	v_cmp_ge_f32_e64 s0, |v67|, 0.5
	s_delay_alu instid0(VALU_DEP_4) | instskip(NEXT) | instid1(VALU_DEP_4)
	v_dual_add_f32 v34, v58, v34 :: v_dual_and_b32 v33, 0xff, v33
	v_cvt_i32_f32_e32 v21, v21
	s_delay_alu instid0(VALU_DEP_4) | instskip(NEXT) | instid1(VALU_DEP_4)
	v_bfi_b32 v5, 0x7fffffff, v91, v5
	v_cndmask_b32_e64 v67, 0, 1.0, s0
	v_cmp_ge_f32_e64 s0, |v68|, 0.5
	v_cvt_i32_f32_e32 v34, v34
	v_and_b32_e32 v21, 0xff, v21
	v_add_f32_e32 v5, v59, v5
	v_bfi_b32 v6, 0x7fffffff, v67, v6
	v_cndmask_b32_e64 v68, 0, 1.0, s0
	v_lshlrev_b16 v34, 8, v34
	v_or_b32_e32 v20, v21, v22
	v_sub_f32_e32 v69, v8, v62
	v_add_f32_e32 v6, v60, v6
	v_cvt_i32_f32_e32 v5, v5
	s_delay_alu instid0(VALU_DEP_4) | instskip(NEXT) | instid1(VALU_DEP_4)
	v_lshlrev_b32_e32 v18, 16, v20
	v_cmp_ge_f32_e64 s0, |v69|, 0.5
	s_delay_alu instid0(VALU_DEP_4) | instskip(NEXT) | instid1(VALU_DEP_4)
	v_cvt_i32_f32_e32 v6, v6
	v_and_b32_e32 v5, 0xff, v5
	s_delay_alu instid0(VALU_DEP_3) | instskip(SKIP_1) | instid1(VALU_DEP_4)
	v_cndmask_b32_e64 v69, 0, 1.0, s0
	v_cmp_ge_f32_e64 s0, |v70|, 0.5
	v_lshlrev_b16 v6, 8, v6
	s_delay_alu instid0(VALU_DEP_3) | instskip(NEXT) | instid1(VALU_DEP_3)
	v_bfi_b32 v8, 0x7fffffff, v69, v8
	v_cndmask_b32_e64 v70, 0, 1.0, s0
	v_cmp_ge_f32_e64 s0, |v71|, 0.5
	s_delay_alu instid0(VALU_DEP_3) | instskip(SKIP_1) | instid1(VALU_DEP_3)
	v_add_f32_e32 v8, v62, v8
	v_bfi_b32 v7, 0x7fffffff, v68, v7
	v_cndmask_b32_e64 v71, 0, 1.0, s0
	v_cmp_ge_f32_e64 s0, |v72|, 0.5
	s_delay_alu instid0(VALU_DEP_4) | instskip(NEXT) | instid1(VALU_DEP_4)
	v_cvt_i32_f32_e32 v8, v8
	v_add_f32_e32 v7, v61, v7
	s_delay_alu instid0(VALU_DEP_4) | instskip(NEXT) | instid1(VALU_DEP_4)
	v_bfi_b32 v2, 0x7fffffff, v71, v2
	v_cndmask_b32_e64 v72, 0, 1.0, s0
	v_cmp_ge_f32_e64 s0, |v73|, 0.5
	v_lshlrev_b16 v8, 8, v8
	v_cvt_i32_f32_e32 v7, v7
	v_add_f32_e32 v2, v64, v2
	v_bfi_b32 v3, 0x7fffffff, v72, v3
	v_cndmask_b32_e64 v73, 0, 1.0, s0
	s_delay_alu instid0(VALU_DEP_4) | instskip(NEXT) | instid1(VALU_DEP_4)
	v_and_b32_e32 v7, 0xff, v7
	v_cvt_i32_f32_e32 v2, v2
	s_delay_alu instid0(VALU_DEP_4) | instskip(NEXT) | instid1(VALU_DEP_4)
	v_add_f32_e32 v3, v65, v3
	v_bfi_b32 v4, 0x7fffffff, v73, v4
	s_delay_alu instid0(VALU_DEP_3) | instskip(NEXT) | instid1(VALU_DEP_3)
	v_lshlrev_b16 v2, 8, v2
	v_cvt_i32_f32_e32 v3, v3
	s_delay_alu instid0(VALU_DEP_3) | instskip(SKIP_1) | instid1(VALU_DEP_3)
	v_add_f32_e32 v4, v66, v4
	v_bfi_b32 v1, 0x7fffffff, v70, v1
	v_and_b32_e32 v3, 0xff, v3
	s_delay_alu instid0(VALU_DEP_3) | instskip(NEXT) | instid1(VALU_DEP_3)
	v_cvt_i32_f32_e32 v4, v4
	v_add_f32_e32 v1, v63, v1
	s_delay_alu instid0(VALU_DEP_2) | instskip(NEXT) | instid1(VALU_DEP_2)
	v_lshlrev_b16 v4, 8, v4
	v_cvt_i32_f32_e32 v1, v1
	s_delay_alu instid0(VALU_DEP_1) | instskip(NEXT) | instid1(VALU_DEP_1)
	v_and_b32_e32 v1, 0xff, v1
	v_or_b32_e32 v1, v1, v2
	s_delay_alu instid0(VALU_DEP_4)
	v_or_b32_e32 v2, v3, v4
	v_or_b32_e32 v3, v5, v6
	;; [unrolled: 1-line block ×3, first 2 shown]
	v_add_f32_e32 v29, v53, v29
	v_or_b32_e32 v4, v7, v8
	v_add_f32_e32 v27, v51, v27
	v_and_b32_e32 v19, 0xffff, v1
	v_lshlrev_b32_e32 v6, 16, v6
	v_cvt_i32_f32_e32 v29, v29
	v_lshlrev_b32_e32 v22, 16, v4
	v_cvt_i32_f32_e32 v27, v27
	v_lshlrev_b32_e32 v20, 16, v2
	v_and_b32_e32 v21, 0xffff, v3
	v_and_b32_e32 v29, 0xff, v29
	v_or_b32_e32 v4, v13, v14
	v_and_b32_e32 v27, 0xff, v27
	v_or_b32_e32 v3, v17, v18
	v_or_b32_e32 v2, v15, v16
	;; [unrolled: 1-line block ×3, first 2 shown]
	v_add_f32_e32 v31, v55, v31
	v_or_b32_e32 v7, v27, v28
	v_or_b32_e32 v1, v11, v12
	s_delay_alu instid0(VALU_DEP_4) | instskip(NEXT) | instid1(VALU_DEP_4)
	v_lshlrev_b32_e32 v24, 16, v8
	v_cvt_i32_f32_e32 v31, v31
	s_delay_alu instid0(VALU_DEP_4) | instskip(SKIP_2) | instid1(VALU_DEP_4)
	v_and_b32_e32 v23, 0xffff, v7
	v_or_b32_e32 v8, v19, v20
	v_or_b32_e32 v7, v21, v22
	v_and_b32_e32 v31, 0xff, v31
	s_delay_alu instid0(VALU_DEP_1) | instskip(NEXT) | instid1(VALU_DEP_1)
	v_or_b32_e32 v5, v31, v32
	v_and_b32_e32 v5, 0xffff, v5
	s_delay_alu instid0(VALU_DEP_1)
	v_or_b32_e32 v6, v5, v6
	v_or_b32_e32 v5, v23, v24
	s_clause 0x2
	global_store_b16 v[9:10], v0, off
	global_store_b128 v[9:10], v[1:4], off offset:2
	global_store_b128 v[9:10], v[5:8], off offset:18
.LBB7_2:
	s_nop 0
	s_sendmsg sendmsg(MSG_DEALLOC_VGPRS)
	s_endpgm
	.section	.rodata,"a",@progbits
	.p2align	6, 0x0
	.amdhsa_kernel _ZL16k_set_rows_quantIl10block_q8_0Li32ETnPFvPKfPT0_EXadL_ZL23quantize_f32_q8_0_blockS2_PS0_EEEvS2_PKT_S4_llllllllllllll15HIP_vector_typeIjLj3EESC_SC_SC_SC_
		.amdhsa_group_segment_fixed_size 0
		.amdhsa_private_segment_fixed_size 0
		.amdhsa_kernarg_size 456
		.amdhsa_user_sgpr_count 15
		.amdhsa_user_sgpr_dispatch_ptr 0
		.amdhsa_user_sgpr_queue_ptr 0
		.amdhsa_user_sgpr_kernarg_segment_ptr 1
		.amdhsa_user_sgpr_dispatch_id 0
		.amdhsa_user_sgpr_private_segment_size 0
		.amdhsa_wavefront_size32 1
		.amdhsa_uses_dynamic_stack 0
		.amdhsa_enable_private_segment 0
		.amdhsa_system_sgpr_workgroup_id_x 1
		.amdhsa_system_sgpr_workgroup_id_y 0
		.amdhsa_system_sgpr_workgroup_id_z 0
		.amdhsa_system_sgpr_workgroup_info 0
		.amdhsa_system_vgpr_workitem_id 0
		.amdhsa_next_free_vgpr 92
		.amdhsa_next_free_sgpr 44
		.amdhsa_reserve_vcc 1
		.amdhsa_float_round_mode_32 0
		.amdhsa_float_round_mode_16_64 0
		.amdhsa_float_denorm_mode_32 3
		.amdhsa_float_denorm_mode_16_64 3
		.amdhsa_dx10_clamp 1
		.amdhsa_ieee_mode 1
		.amdhsa_fp16_overflow 0
		.amdhsa_workgroup_processor_mode 1
		.amdhsa_memory_ordered 1
		.amdhsa_forward_progress 0
		.amdhsa_shared_vgpr_count 0
		.amdhsa_exception_fp_ieee_invalid_op 0
		.amdhsa_exception_fp_denorm_src 0
		.amdhsa_exception_fp_ieee_div_zero 0
		.amdhsa_exception_fp_ieee_overflow 0
		.amdhsa_exception_fp_ieee_underflow 0
		.amdhsa_exception_fp_ieee_inexact 0
		.amdhsa_exception_int_div_zero 0
	.end_amdhsa_kernel
	.section	.text._ZL16k_set_rows_quantIl10block_q8_0Li32ETnPFvPKfPT0_EXadL_ZL23quantize_f32_q8_0_blockS2_PS0_EEEvS2_PKT_S4_llllllllllllll15HIP_vector_typeIjLj3EESC_SC_SC_SC_,"axG",@progbits,_ZL16k_set_rows_quantIl10block_q8_0Li32ETnPFvPKfPT0_EXadL_ZL23quantize_f32_q8_0_blockS2_PS0_EEEvS2_PKT_S4_llllllllllllll15HIP_vector_typeIjLj3EESC_SC_SC_SC_,comdat
.Lfunc_end7:
	.size	_ZL16k_set_rows_quantIl10block_q8_0Li32ETnPFvPKfPT0_EXadL_ZL23quantize_f32_q8_0_blockS2_PS0_EEEvS2_PKT_S4_llllllllllllll15HIP_vector_typeIjLj3EESC_SC_SC_SC_, .Lfunc_end7-_ZL16k_set_rows_quantIl10block_q8_0Li32ETnPFvPKfPT0_EXadL_ZL23quantize_f32_q8_0_blockS2_PS0_EEEvS2_PKT_S4_llllllllllllll15HIP_vector_typeIjLj3EESC_SC_SC_SC_
                                        ; -- End function
	.section	.AMDGPU.csdata,"",@progbits
; Kernel info:
; codeLenInByte = 3852
; NumSgprs: 46
; NumVgprs: 92
; ScratchSize: 0
; MemoryBound: 0
; FloatMode: 240
; IeeeMode: 1
; LDSByteSize: 0 bytes/workgroup (compile time only)
; SGPRBlocks: 5
; VGPRBlocks: 11
; NumSGPRsForWavesPerEU: 46
; NumVGPRsForWavesPerEU: 92
; Occupancy: 16
; WaveLimiterHint : 1
; COMPUTE_PGM_RSRC2:SCRATCH_EN: 0
; COMPUTE_PGM_RSRC2:USER_SGPR: 15
; COMPUTE_PGM_RSRC2:TRAP_HANDLER: 0
; COMPUTE_PGM_RSRC2:TGID_X_EN: 1
; COMPUTE_PGM_RSRC2:TGID_Y_EN: 0
; COMPUTE_PGM_RSRC2:TGID_Z_EN: 0
; COMPUTE_PGM_RSRC2:TIDIG_COMP_CNT: 0
	.section	.text._ZL16k_set_rows_quantIl12block_iq4_nlLi32ETnPFvPKfPT0_EXadL_ZL25quantize_f32_iq4_nl_blockS2_PS0_EEEvS2_PKT_S4_llllllllllllll15HIP_vector_typeIjLj3EESC_SC_SC_SC_,"axG",@progbits,_ZL16k_set_rows_quantIl12block_iq4_nlLi32ETnPFvPKfPT0_EXadL_ZL25quantize_f32_iq4_nl_blockS2_PS0_EEEvS2_PKT_S4_llllllllllllll15HIP_vector_typeIjLj3EESC_SC_SC_SC_,comdat
	.globl	_ZL16k_set_rows_quantIl12block_iq4_nlLi32ETnPFvPKfPT0_EXadL_ZL25quantize_f32_iq4_nl_blockS2_PS0_EEEvS2_PKT_S4_llllllllllllll15HIP_vector_typeIjLj3EESC_SC_SC_SC_ ; -- Begin function _ZL16k_set_rows_quantIl12block_iq4_nlLi32ETnPFvPKfPT0_EXadL_ZL25quantize_f32_iq4_nl_blockS2_PS0_EEEvS2_PKT_S4_llllllllllllll15HIP_vector_typeIjLj3EESC_SC_SC_SC_
	.p2align	8
	.type	_ZL16k_set_rows_quantIl12block_iq4_nlLi32ETnPFvPKfPT0_EXadL_ZL25quantize_f32_iq4_nl_blockS2_PS0_EEEvS2_PKT_S4_llllllllllllll15HIP_vector_typeIjLj3EESC_SC_SC_SC_,@function
_ZL16k_set_rows_quantIl12block_iq4_nlLi32ETnPFvPKfPT0_EXadL_ZL25quantize_f32_iq4_nl_blockS2_PS0_EEEvS2_PKT_S4_llllllllllllll15HIP_vector_typeIjLj3EESC_SC_SC_SC_: ; @_ZL16k_set_rows_quantIl12block_iq4_nlLi32ETnPFvPKfPT0_EXadL_ZL25quantize_f32_iq4_nl_blockS2_PS0_EEEvS2_PKT_S4_llllllllllllll15HIP_vector_typeIjLj3EESC_SC_SC_SC_
; %bb.0:
	s_clause 0x1
	s_load_b32 s4, s[0:1], 0xd4
	s_load_b64 s[2:3], s[0:1], 0x18
	v_mov_b32_e32 v1, 0
	s_waitcnt lgkmcnt(0)
	s_and_b32 s4, s4, 0xffff
	s_delay_alu instid0(VALU_DEP_1) | instid1(SALU_CYCLE_1)
	v_mad_u64_u32 v[2:3], null, s4, s15, v[0:1]
	s_delay_alu instid0(VALU_DEP_1)
	v_cmp_gt_i64_e32 vcc_lo, s[2:3], v[2:3]
	s_and_saveexec_b32 s2, vcc_lo
	s_cbranch_execz .LBB8_16
; %bb.1:
	s_load_b256 s[20:27], s[0:1], 0x88
	v_lshlrev_b32_e32 v13, 5, v2
	s_clause 0x2
	s_load_b128 s[28:31], s[0:1], 0xa8
	s_load_b512 s[4:19], s[0:1], 0x40
	s_load_b64 s[2:3], s[0:1], 0x10
	s_waitcnt lgkmcnt(0)
	v_mul_hi_u32 v0, s20, v13
	s_delay_alu instid0(VALU_DEP_1) | instskip(NEXT) | instid1(VALU_DEP_1)
	v_add_nc_u32_e32 v0, v13, v0
	v_lshrrev_b32_e32 v12, s21, v0
	s_delay_alu instid0(VALU_DEP_1) | instskip(NEXT) | instid1(VALU_DEP_1)
	v_mul_hi_u32 v0, v12, s23
	v_add_nc_u32_e32 v0, v12, v0
	s_delay_alu instid0(VALU_DEP_1) | instskip(NEXT) | instid1(VALU_DEP_1)
	v_lshrrev_b32_e32 v0, s24, v0
	v_mul_hi_u32 v2, v0, s26
	s_delay_alu instid0(VALU_DEP_1) | instskip(NEXT) | instid1(VALU_DEP_1)
	v_add_nc_u32_e32 v2, v0, v2
	v_lshrrev_b32_e32 v39, s27, v2
	v_mul_lo_u32 v2, v0, s25
	s_load_b128 s[24:27], s[0:1], 0x0
	s_delay_alu instid0(VALU_DEP_2) | instskip(SKIP_1) | instid1(VALU_DEP_3)
	v_mul_lo_u32 v3, v39, s28
	v_mad_u64_u32 v[7:8], null, v39, s8, 0
	v_sub_nc_u32_e32 v28, v12, v2
	s_delay_alu instid0(VALU_DEP_3) | instskip(NEXT) | instid1(VALU_DEP_2)
	v_sub_nc_u32_e32 v4, v0, v3
	v_mad_u64_u32 v[2:3], null, v28, s4, 0
	v_mad_u64_u32 v[29:30], null, v28, s10, 0
	s_delay_alu instid0(VALU_DEP_3) | instskip(SKIP_2) | instid1(VALU_DEP_4)
	v_mul_hi_u32 v21, v4, s29
	v_mad_u64_u32 v[5:6], null, v4, s6, 0
	s_load_b32 s6, s[0:1], 0xc0
	v_mov_b32_e32 v0, v3
	s_delay_alu instid0(VALU_DEP_3) | instskip(NEXT) | instid1(VALU_DEP_2)
	v_add_nc_u32_e32 v26, v4, v21
	v_mad_u64_u32 v[9:10], null, v28, s5, v[0:1]
	s_load_b64 s[4:5], s[0:1], 0xb8
	s_delay_alu instid0(VALU_DEP_4) | instskip(NEXT) | instid1(VALU_DEP_3)
	v_mov_b32_e32 v3, v6
	v_lshrrev_b32_e32 v26, s30, v26
	s_load_b64 s[0:1], s[0:1], 0x80
	s_delay_alu instid0(VALU_DEP_2) | instskip(NEXT) | instid1(VALU_DEP_2)
	v_mad_u64_u32 v[10:11], null, v4, s7, v[3:4]
	v_mul_lo_u32 v26, v26, s31
	v_mov_b32_e32 v3, v9
	s_delay_alu instid0(VALU_DEP_1) | instskip(NEXT) | instid1(VALU_DEP_3)
	v_lshlrev_b64 v[2:3], 2, v[2:3]
	v_sub_nc_u32_e32 v36, v4, v26
	s_waitcnt lgkmcnt(0)
	v_mul_hi_u32 v25, v39, s4
	v_mov_b32_e32 v0, v8
	v_mul_lo_u32 v8, v12, s22
	v_mad_u64_u32 v[31:32], null, v36, s12, 0
	v_mov_b32_e32 v6, v10
	v_add_co_u32 v9, vcc_lo, s24, v2
	v_add_nc_u32_e32 v25, v39, v25
	v_mad_u64_u32 v[11:12], null, v39, s9, v[0:1]
	v_sub_nc_u32_e32 v0, v13, v8
	v_add_co_ci_u32_e32 v10, vcc_lo, s25, v3, vcc_lo
	s_delay_alu instid0(VALU_DEP_4) | instskip(SKIP_3) | instid1(VALU_DEP_1)
	v_lshrrev_b32_e32 v25, s5, v25
	s_add_u32 s4, 0, 0x38e27e00
	s_addc_u32 s5, 0, 62
	s_mul_hi_u32 s7, s4, 0xffffffee
	v_mul_lo_u32 v25, v25, s6
	s_mul_i32 s6, s4, 0xffffffee
	s_delay_alu instid0(VALU_DEP_1) | instskip(SKIP_1) | instid1(VALU_DEP_2)
	v_sub_nc_u32_e32 v37, v39, v25
	v_mov_b32_e32 v25, v30
	v_mad_u64_u32 v[33:34], null, v37, s14, 0
	v_mov_b32_e32 v8, v11
	s_delay_alu instid0(VALU_DEP_3) | instskip(SKIP_4) | instid1(VALU_DEP_4)
	v_mad_u64_u32 v[26:27], null, v28, s11, v[25:26]
	v_mov_b32_e32 v25, v32
	v_lshlrev_b64 v[5:6], 2, v[5:6]
	v_mov_b32_e32 v27, v34
	v_lshlrev_b64 v[2:3], 2, v[7:8]
	v_mad_u64_u32 v[34:35], null, v36, s13, v[25:26]
	s_delay_alu instid0(VALU_DEP_4) | instskip(SKIP_2) | instid1(VALU_DEP_3)
	v_add_co_u32 v7, vcc_lo, v9, v5
	v_add_co_ci_u32_e32 v8, vcc_lo, v10, v6, vcc_lo
	v_lshlrev_b64 v[5:6], 2, v[0:1]
	v_add_co_u32 v2, vcc_lo, v7, v2
	s_delay_alu instid0(VALU_DEP_3) | instskip(SKIP_1) | instid1(VALU_DEP_3)
	v_add_co_ci_u32_e32 v3, vcc_lo, v8, v3, vcc_lo
	v_mov_b32_e32 v30, v26
	v_add_co_u32 v2, vcc_lo, v2, v5
	s_delay_alu instid0(VALU_DEP_3)
	v_add_co_ci_u32_e32 v3, vcc_lo, v3, v6, vcc_lo
	s_clause 0x4
	global_load_b128 v[5:8], v[2:3], off
	global_load_b128 v[9:12], v[2:3], off offset:16
	global_load_b128 v[13:16], v[2:3], off offset:32
	;; [unrolled: 1-line block ×4, first 2 shown]
	v_mad_u64_u32 v[35:36], null, v37, s15, v[27:28]
	global_load_b128 v[25:28], v[2:3], off offset:80
	v_mov_b32_e32 v32, v34
	v_lshlrev_b64 v[29:30], 3, v[29:30]
	v_lshrrev_b32_e32 v0, 5, v0
	v_mov_b32_e32 v34, v35
	s_delay_alu instid0(VALU_DEP_4) | instskip(NEXT) | instid1(VALU_DEP_4)
	v_lshlrev_b64 v[31:32], 3, v[31:32]
	v_add_co_u32 v35, vcc_lo, s26, v29
	v_add_co_ci_u32_e32 v36, vcc_lo, s27, v30, vcc_lo
	s_delay_alu instid0(VALU_DEP_4) | instskip(NEXT) | instid1(VALU_DEP_3)
	v_lshlrev_b64 v[29:30], 3, v[33:34]
	v_add_co_u32 v31, vcc_lo, v35, v31
	s_delay_alu instid0(VALU_DEP_3) | instskip(NEXT) | instid1(VALU_DEP_2)
	v_add_co_ci_u32_e32 v32, vcc_lo, v36, v32, vcc_lo
	v_add_co_u32 v29, vcc_lo, v31, v29
	s_delay_alu instid0(VALU_DEP_2)
	v_add_co_ci_u32_e32 v30, vcc_lo, v32, v30, vcc_lo
	global_load_b64 v[37:38], v[29:30], off
	s_clause 0x1
	global_load_b128 v[29:32], v[2:3], off offset:96
	global_load_b128 v[33:36], v[2:3], off offset:112
	s_waitcnt vmcnt(8)
	v_cmp_lg_f32_e32 vcc_lo, 0, v5
	v_cndmask_b32_e32 v40, 0, v5, vcc_lo
	v_cndmask_b32_e64 v5, 0, |v5|, vcc_lo
	s_delay_alu instid0(VALU_DEP_1) | instskip(NEXT) | instid1(VALU_DEP_1)
	v_cmp_lt_f32_e64 vcc_lo, v5, |v6|
	v_cndmask_b32_e64 v5, v5, |v6|, vcc_lo
	s_delay_alu instid0(VALU_DEP_4) | instskip(NEXT) | instid1(VALU_DEP_2)
	v_cndmask_b32_e32 v40, v40, v6, vcc_lo
	v_cmp_lt_f32_e64 vcc_lo, v5, |v7|
	s_delay_alu instid0(VALU_DEP_1) | instskip(NEXT) | instid1(VALU_DEP_3)
	v_cndmask_b32_e64 v5, v5, |v7|, vcc_lo
	v_cndmask_b32_e32 v6, v40, v7, vcc_lo
	s_delay_alu instid0(VALU_DEP_2) | instskip(NEXT) | instid1(VALU_DEP_1)
	v_cmp_lt_f32_e64 vcc_lo, v5, |v8|
	v_cndmask_b32_e64 v5, v5, |v8|, vcc_lo
	s_delay_alu instid0(VALU_DEP_3) | instskip(SKIP_1) | instid1(VALU_DEP_2)
	v_cndmask_b32_e32 v6, v6, v8, vcc_lo
	s_waitcnt vmcnt(7)
	v_cmp_lt_f32_e64 vcc_lo, v5, |v9|
	s_delay_alu instid0(VALU_DEP_1) | instskip(NEXT) | instid1(VALU_DEP_3)
	v_cndmask_b32_e64 v5, v5, |v9|, vcc_lo
	v_cndmask_b32_e32 v6, v6, v9, vcc_lo
	s_waitcnt vmcnt(2)
	v_mul_lo_u32 v9, v38, s16
	s_delay_alu instid0(VALU_DEP_3) | instskip(NEXT) | instid1(VALU_DEP_1)
	v_cmp_lt_f32_e64 vcc_lo, v5, |v10|
	v_cndmask_b32_e64 v5, v5, |v10|, vcc_lo
	v_cndmask_b32_e32 v6, v6, v10, vcc_lo
	v_mul_lo_u32 v10, v37, s17
	s_delay_alu instid0(VALU_DEP_3) | instskip(NEXT) | instid1(VALU_DEP_1)
	v_cmp_lt_f32_e64 vcc_lo, v5, |v11|
	v_cndmask_b32_e64 v5, v5, |v11|, vcc_lo
	s_delay_alu instid0(VALU_DEP_4) | instskip(NEXT) | instid1(VALU_DEP_2)
	v_cndmask_b32_e32 v6, v6, v11, vcc_lo
	v_cmp_lt_f32_e64 vcc_lo, v5, |v12|
	s_delay_alu instid0(VALU_DEP_1) | instskip(NEXT) | instid1(VALU_DEP_3)
	v_cndmask_b32_e64 v5, v5, |v12|, vcc_lo
	v_cndmask_b32_e32 v6, v6, v12, vcc_lo
	s_delay_alu instid0(VALU_DEP_2) | instskip(NEXT) | instid1(VALU_DEP_1)
	v_cmp_lt_f32_e64 vcc_lo, v5, |v13|
	v_cndmask_b32_e64 v5, v5, |v13|, vcc_lo
	s_delay_alu instid0(VALU_DEP_3) | instskip(NEXT) | instid1(VALU_DEP_2)
	v_cndmask_b32_e32 v6, v6, v13, vcc_lo
	v_cmp_lt_f32_e64 vcc_lo, v5, |v14|
	s_delay_alu instid0(VALU_DEP_1) | instskip(NEXT) | instid1(VALU_DEP_3)
	v_cndmask_b32_e64 v5, v5, |v14|, vcc_lo
	v_cndmask_b32_e32 v6, v6, v14, vcc_lo
	s_delay_alu instid0(VALU_DEP_2) | instskip(NEXT) | instid1(VALU_DEP_1)
	v_cmp_lt_f32_e64 vcc_lo, v5, |v15|
	v_cndmask_b32_e64 v5, v5, |v15|, vcc_lo
	s_delay_alu instid0(VALU_DEP_3) | instskip(NEXT) | instid1(VALU_DEP_2)
	;; [unrolled: 9-line block ×7, first 2 shown]
	v_cndmask_b32_e32 v6, v6, v25, vcc_lo
	v_cmp_lt_f32_e64 vcc_lo, v5, |v26|
	s_delay_alu instid0(VALU_DEP_1) | instskip(NEXT) | instid1(VALU_DEP_3)
	v_cndmask_b32_e64 v5, v5, |v26|, vcc_lo
	v_cndmask_b32_e32 v6, v6, v26, vcc_lo
	s_delay_alu instid0(VALU_DEP_2) | instskip(NEXT) | instid1(VALU_DEP_1)
	v_cmp_lt_f32_e64 vcc_lo, v5, |v27|
	v_cndmask_b32_e64 v8, v5, |v27|, vcc_lo
	s_delay_alu instid0(VALU_DEP_3) | instskip(SKIP_1) | instid1(VALU_DEP_3)
	v_cndmask_b32_e32 v7, v6, v27, vcc_lo
	v_mad_u64_u32 v[5:6], null, v37, s16, 0
	v_cmp_lt_f32_e64 vcc_lo, v8, |v28|
	s_delay_alu instid0(VALU_DEP_1) | instskip(NEXT) | instid1(VALU_DEP_4)
	v_cndmask_b32_e64 v12, v8, |v28|, vcc_lo
	v_cndmask_b32_e32 v11, v7, v28, vcc_lo
	s_delay_alu instid0(VALU_DEP_4) | instskip(SKIP_1) | instid1(VALU_DEP_3)
	v_add3_u32 v6, v6, v10, v9
	s_waitcnt vmcnt(1)
	v_cmp_lt_f32_e64 vcc_lo, v12, |v29|
	s_delay_alu instid0(VALU_DEP_2) | instskip(SKIP_1) | instid1(VALU_DEP_2)
	v_mad_u64_u32 v[7:8], null, v39, s0, v[5:6]
	s_add_i32 s0, s5, 0xe38e350
	v_cndmask_b32_e64 v9, v12, |v29|, vcc_lo
	v_cndmask_b32_e32 v6, v11, v29, vcc_lo
	s_sub_i32 s5, s7, s4
	s_mul_i32 s8, s0, 0xffffffee
	s_mul_hi_u32 s7, s4, s6
	v_cmp_lt_f32_e64 vcc_lo, v9, |v30|
	v_mov_b32_e32 v5, v8
	s_add_i32 s5, s5, s8
	s_mul_hi_u32 s9, s0, s6
	s_mul_hi_u32 s8, s4, s5
	v_cndmask_b32_e64 v10, v9, |v30|, vcc_lo
	v_cndmask_b32_e32 v6, v6, v30, vcc_lo
	s_mul_i32 s6, s0, s6
	s_mul_hi_u32 s10, s0, s5
	s_delay_alu instid0(VALU_DEP_2) | instskip(NEXT) | instid1(VALU_DEP_2)
	v_cmp_lt_f32_e64 vcc_lo, v10, |v31|
	v_mad_u64_u32 v[8:9], null, v39, s1, v[5:6]
	s_mul_i32 s1, s4, s5
	s_mul_i32 s5, s0, s5
	s_delay_alu instid0(VALU_DEP_2) | instskip(SKIP_3) | instid1(VALU_DEP_3)
	v_cndmask_b32_e64 v10, v10, |v31|, vcc_lo
	v_cndmask_b32_e32 v9, v6, v31, vcc_lo
	s_add_u32 s1, s7, s1
	s_addc_u32 s7, 0, s8
	v_mad_u64_u32 v[5:6], null, v4, s18, v[7:8]
	v_cmp_lt_f32_e64 vcc_lo, v10, |v32|
	s_add_u32 s1, s1, s6
	s_addc_u32 s1, s7, s9
	s_addc_u32 s6, s10, 0
	s_add_u32 s1, s1, s5
	v_cndmask_b32_e64 v8, v10, |v32|, vcc_lo
	v_cndmask_b32_e32 v7, v9, v32, vcc_lo
	v_add_co_u32 v12, s1, s4, s1
	s_addc_u32 s4, 0, s6
	s_waitcnt vmcnt(0)
	v_cmp_lt_f32_e64 vcc_lo, v8, |v33|
	s_cmp_lg_u32 s1, 0
	s_addc_u32 s1, s0, s4
	s_delay_alu instid0(VALU_DEP_1) | instskip(SKIP_3) | instid1(VALU_DEP_4)
	v_cndmask_b32_e64 v11, v8, |v33|, vcc_lo
	v_cndmask_b32_e32 v10, v7, v33, vcc_lo
	v_mad_u64_u32 v[7:8], null, v4, s19, v[6:7]
	v_mad_u64_u32 v[8:9], null, v5, s1, 0
	v_cmp_lt_f32_e64 vcc_lo, v11, |v34|
	v_mul_hi_u32 v4, v5, v12
	s_delay_alu instid0(VALU_DEP_2) | instskip(SKIP_2) | instid1(VALU_DEP_4)
	v_cndmask_b32_e64 v13, v11, |v34|, vcc_lo
	v_cndmask_b32_e32 v6, v10, v34, vcc_lo
	v_mad_u64_u32 v[10:11], null, v7, v12, 0
	v_add_co_u32 v4, s0, v4, v8
	s_delay_alu instid0(VALU_DEP_4) | instskip(SKIP_2) | instid1(VALU_DEP_3)
	v_cmp_lt_f32_e64 vcc_lo, v13, |v35|
	v_add_co_ci_u32_e64 v12, s0, 0, v9, s0
	v_mad_u64_u32 v[8:9], null, v7, s1, 0
	v_cndmask_b32_e64 v13, v13, |v35|, vcc_lo
	v_cndmask_b32_e32 v6, v6, v35, vcc_lo
	v_add_co_u32 v4, vcc_lo, v4, v10
	v_add_co_ci_u32_e32 v4, vcc_lo, v12, v11, vcc_lo
	s_delay_alu instid0(VALU_DEP_4) | instskip(SKIP_1) | instid1(VALU_DEP_3)
	v_cmp_lt_f32_e64 s0, v13, |v36|
	v_add_co_ci_u32_e32 v9, vcc_lo, 0, v9, vcc_lo
	v_add_co_u32 v11, vcc_lo, v4, v8
	s_delay_alu instid0(VALU_DEP_3) | instskip(NEXT) | instid1(VALU_DEP_3)
	v_cndmask_b32_e64 v6, v6, v36, s0
	v_add_co_ci_u32_e32 v13, vcc_lo, 0, v9, vcc_lo
	s_delay_alu instid0(VALU_DEP_3) | instskip(NEXT) | instid1(VALU_DEP_3)
	v_mad_u64_u32 v[8:9], null, v11, 18, 0
	v_div_scale_f32 v12, null, 0xc2fe0000, 0xc2fe0000, v6
	s_mov_b32 s1, 0
	s_delay_alu instid0(VALU_DEP_1) | instskip(NEXT) | instid1(VALU_DEP_2)
	v_rcp_f32_e32 v14, v12
	v_mov_b32_e32 v4, v9
	s_delay_alu instid0(VALU_DEP_1) | instskip(SKIP_4) | instid1(VALU_DEP_1)
	v_mad_u64_u32 v[9:10], null, v13, 18, v[4:5]
	v_div_scale_f32 v4, vcc_lo, v6, 0xc2fe0000, v6
	s_waitcnt_depctr 0xfff
	v_fma_f32 v15, -v12, v14, 1.0
	v_sub_co_u32 v5, s0, v5, v8
	v_sub_co_ci_u32_e64 v7, s0, v7, v9, s0
	s_delay_alu instid0(VALU_DEP_3) | instskip(NEXT) | instid1(VALU_DEP_3)
	v_fmac_f32_e32 v14, v15, v14
	v_sub_co_u32 v9, s0, v5, 18
	s_delay_alu instid0(VALU_DEP_1) | instskip(NEXT) | instid1(VALU_DEP_3)
	v_subrev_co_ci_u32_e64 v15, s0, 0, v7, s0
	v_mul_f32_e32 v8, v4, v14
	s_delay_alu instid0(VALU_DEP_3) | instskip(NEXT) | instid1(VALU_DEP_2)
	v_cmp_lt_u32_e64 s0, 17, v9
	v_fma_f32 v10, -v12, v8, v4
	s_delay_alu instid0(VALU_DEP_2) | instskip(NEXT) | instid1(VALU_DEP_2)
	v_cndmask_b32_e64 v9, 0, -1, s0
	v_fmac_f32_e32 v8, v10, v14
	v_add_co_u32 v10, s0, v11, 2
	s_delay_alu instid0(VALU_DEP_1) | instskip(NEXT) | instid1(VALU_DEP_3)
	v_add_co_ci_u32_e64 v16, s0, 0, v13, s0
	v_fma_f32 v4, -v12, v8, v4
	v_cmp_eq_u32_e64 s0, 0, v15
	s_delay_alu instid0(VALU_DEP_2)
	v_div_fmas_f32 v4, v4, v14, v8
	v_add_co_u32 v8, vcc_lo, v11, 1
	v_add_co_ci_u32_e32 v12, vcc_lo, 0, v13, vcc_lo
	v_cmp_lt_u32_e32 vcc_lo, 17, v5
	v_cndmask_b32_e64 v9, -1, v9, s0
	v_div_fixup_f32 v6, v4, 0xc2fe0000, v6
	v_cmp_eq_u32_e64 s0, 0, v7
	v_cndmask_b32_e64 v4, 0, -1, vcc_lo
	s_delay_alu instid0(VALU_DEP_4) | instskip(NEXT) | instid1(VALU_DEP_4)
	v_cmp_ne_u32_e32 vcc_lo, 0, v9
	v_div_scale_f32 v5, null, v6, v6, 1.0
	s_delay_alu instid0(VALU_DEP_3) | instskip(SKIP_1) | instid1(VALU_DEP_3)
	v_cndmask_b32_e64 v4, -1, v4, s0
	v_cndmask_b32_e32 v7, v12, v16, vcc_lo
	v_rcp_f32_e32 v12, v5
	v_cndmask_b32_e32 v8, v8, v10, vcc_lo
	s_mov_b32 s0, s1
	v_cmp_ne_u32_e32 vcc_lo, 0, v4
	s_delay_alu instid0(VALU_DEP_2)
	v_cndmask_b32_e32 v4, v11, v8, vcc_lo
	v_cndmask_b32_e32 v10, v13, v7, vcc_lo
	s_waitcnt_depctr 0xfff
	v_fma_f32 v9, -v5, v12, 1.0
	v_div_scale_f32 v11, vcc_lo, 1.0, v6, 1.0
	v_mad_u64_u32 v[7:8], null, v4, 18, s[2:3]
	s_delay_alu instid0(VALU_DEP_3) | instskip(NEXT) | instid1(VALU_DEP_1)
	v_fmac_f32_e32 v12, v9, v12
	v_dual_mul_f32 v13, v11, v12 :: v_dual_mov_b32 v4, v8
	s_delay_alu instid0(VALU_DEP_1) | instskip(NEXT) | instid1(VALU_DEP_2)
	v_mad_u64_u32 v[8:9], null, v10, 18, v[4:5]
	v_fma_f32 v4, -v5, v13, v11
	s_delay_alu instid0(VALU_DEP_1) | instskip(NEXT) | instid1(VALU_DEP_1)
	v_fmac_f32_e32 v13, v4, v12
	v_fma_f32 v9, -v5, v13, v11
	s_delay_alu instid0(VALU_DEP_4) | instskip(NEXT) | instid1(VALU_DEP_2)
	v_mad_u64_u32 v[4:5], null, v0, 18, v[7:8]
	v_div_fmas_f32 v0, v9, v12, v13
	s_delay_alu instid0(VALU_DEP_2) | instskip(NEXT) | instid1(VALU_DEP_3)
	v_add_co_u32 v7, vcc_lo, v4, 2
	v_add_co_ci_u32_e32 v8, vcc_lo, 0, v5, vcc_lo
	s_delay_alu instid0(VALU_DEP_3) | instskip(SKIP_1) | instid1(VALU_DEP_2)
	v_div_fixup_f32 v0, v0, v6, 1.0
	v_cmp_neq_f32_e32 vcc_lo, 0, v6
	v_dual_cndmask_b32 v9, 0, v0 :: v_dual_mov_b32 v0, 0
	s_branch .LBB8_4
.LBB8_2:                                ;   in Loop: Header=BB8_4 Depth=1
	s_or_b32 exec_lo, exec_lo, s5
.LBB8_3:                                ;   in Loop: Header=BB8_4 Depth=1
	s_delay_alu instid0(SALU_CYCLE_1) | instskip(NEXT) | instid1(VALU_DEP_1)
	s_or_b32 exec_lo, exec_lo, s4
	v_dual_mul_f32 v17, v10, v10 :: v_dual_and_b32 v14, 0xff, v12
	v_dual_mul_f32 v16, v11, v11 :: v_dual_and_b32 v15, 0xff, v13
	s_getpc_b64 s[2:3]
	s_add_u32 s2, s2, _ZL13kvalues_iq4nl@rel32@lo+4
	s_addc_u32 s3, s3, _ZL13kvalues_iq4nl@rel32@hi+12
	s_clause 0x1
	global_load_i8 v14, v14, s[2:3]
	global_load_i8 v15, v15, s[2:3]
	v_lshl_or_b32 v12, v12, 4, v13
	s_waitcnt vmcnt(1)
	v_cvt_f32_i32_e32 v14, v14
	s_waitcnt vmcnt(0)
	v_cvt_f32_i32_e32 v15, v15
	s_delay_alu instid0(VALU_DEP_1) | instskip(NEXT) | instid1(VALU_DEP_1)
	v_dual_mul_f32 v16, v16, v14 :: v_dual_mul_f32 v17, v17, v15
	v_mul_f32_e32 v18, v11, v16
	v_mul_f32_e32 v14, v16, v14
	s_delay_alu instid0(VALU_DEP_2) | instskip(NEXT) | instid1(VALU_DEP_2)
	v_fmac_f32_e32 v18, v10, v17
	v_fmac_f32_e32 v14, v17, v15
	v_add_co_u32 v10, vcc_lo, v7, s0
	v_add_co_ci_u32_e32 v11, vcc_lo, 0, v8, vcc_lo
	s_delay_alu instid0(VALU_DEP_4) | instskip(NEXT) | instid1(VALU_DEP_4)
	v_add_f32_e32 v1, v1, v18
	v_add_f32_e32 v0, v0, v14
	s_add_i32 s0, s0, 1
	global_store_b8 v[10:11], v12, off
	s_cmp_lg_u32 s0, 16
	s_cbranch_scc0 .LBB8_15
.LBB8_4:                                ; =>This Loop Header: Depth=1
                                        ;     Child Loop BB8_7 Depth 2
                                        ;     Child Loop BB8_13 Depth 2
	s_lshl_b64 s[2:3], s[0:1], 2
	s_mov_b32 s4, exec_lo
	v_add_co_u32 v11, vcc_lo, v2, s2
	v_add_co_ci_u32_e32 v12, vcc_lo, s3, v3, vcc_lo
	s_clause 0x1
	global_load_b32 v10, v[11:12], off
	global_load_b32 v11, v[11:12], off offset:64
	v_dual_mov_b32 v12, 0 :: v_dual_mov_b32 v13, 0
	s_waitcnt vmcnt(1)
	v_mul_f32_e32 v14, v9, v10
	s_delay_alu instid0(VALU_DEP_1)
	v_cmpx_nge_f32_e32 0xc2fe0000, v14
	s_cbranch_execz .LBB8_10
; %bb.5:                                ;   in Loop: Header=BB8_4 Depth=1
	v_mov_b32_e32 v13, 15
	s_mov_b32 s5, exec_lo
	v_cmpx_nle_f32_e32 0x42e20000, v14
	s_cbranch_execz .LBB8_9
; %bb.6:                                ;   in Loop: Header=BB8_4 Depth=1
	v_mov_b32_e32 v13, 15
	v_mov_b32_e32 v15, 0
	s_mov_b32 s6, 0
	.p2align	6
.LBB8_7:                                ;   Parent Loop BB8_4 Depth=1
                                        ; =>  This Inner Loop Header: Depth=2
	s_delay_alu instid0(VALU_DEP_1) | instskip(SKIP_3) | instid1(VALU_DEP_1)
	v_add_nc_u32_e32 v16, v15, v13
	s_getpc_b64 s[2:3]
	s_add_u32 s2, s2, _ZL13kvalues_iq4nl@rel32@lo+4
	s_addc_u32 s3, s3, _ZL13kvalues_iq4nl@rel32@hi+12
	v_lshrrev_b32_e32 v17, 31, v16
	s_delay_alu instid0(VALU_DEP_1) | instskip(NEXT) | instid1(VALU_DEP_1)
	v_add_nc_u32_e32 v16, v16, v17
	v_ashrrev_i32_e32 v18, 1, v16
	s_delay_alu instid0(VALU_DEP_1) | instskip(SKIP_1) | instid1(VALU_DEP_2)
	v_ashrrev_i32_e32 v17, 31, v18
	v_add_co_u32 v16, vcc_lo, v18, s2
	v_add_co_ci_u32_e32 v17, vcc_lo, s3, v17, vcc_lo
	global_load_i8 v16, v[16:17], off
	s_waitcnt vmcnt(0)
	v_cvt_f32_i32_e32 v16, v16
	s_delay_alu instid0(VALU_DEP_1) | instskip(SKIP_2) | instid1(VALU_DEP_1)
	v_cmp_lt_f32_e32 vcc_lo, v14, v16
	v_cndmask_b32_e32 v13, v13, v18, vcc_lo
	v_cndmask_b32_e32 v15, v18, v15, vcc_lo
	v_sub_nc_u32_e32 v16, v13, v15
	s_delay_alu instid0(VALU_DEP_1) | instskip(SKIP_1) | instid1(SALU_CYCLE_1)
	v_cmp_gt_i32_e32 vcc_lo, 2, v16
	s_or_b32 s6, vcc_lo, s6
	s_and_not1_b32 exec_lo, exec_lo, s6
	s_cbranch_execnz .LBB8_7
; %bb.8:                                ;   in Loop: Header=BB8_4 Depth=1
	s_or_b32 exec_lo, exec_lo, s6
	v_add_nc_u32_e32 v19, -1, v13
	v_ashrrev_i32_e32 v18, 31, v13
	s_delay_alu instid0(VALU_DEP_2) | instskip(SKIP_1) | instid1(VALU_DEP_2)
	v_ashrrev_i32_e32 v16, 31, v19
	v_add_co_u32 v15, vcc_lo, v19, s2
	v_add_co_ci_u32_e32 v16, vcc_lo, s3, v16, vcc_lo
	v_add_co_u32 v17, vcc_lo, v13, s2
	v_add_co_ci_u32_e32 v18, vcc_lo, s3, v18, vcc_lo
	s_clause 0x1
	global_load_i8 v15, v[15:16], off
	global_load_i8 v16, v[17:18], off
	s_waitcnt vmcnt(1)
	v_cvt_f32_i32_e32 v15, v15
	s_waitcnt vmcnt(0)
	v_cvt_f32_i32_e32 v16, v16
	s_delay_alu instid0(VALU_DEP_1) | instskip(NEXT) | instid1(VALU_DEP_1)
	v_dual_sub_f32 v15, v14, v15 :: v_dual_sub_f32 v14, v16, v14
	v_cmp_lt_f32_e32 vcc_lo, v15, v14
	v_cndmask_b32_e32 v13, v13, v19, vcc_lo
.LBB8_9:                                ;   in Loop: Header=BB8_4 Depth=1
	s_or_b32 exec_lo, exec_lo, s5
.LBB8_10:                               ;   in Loop: Header=BB8_4 Depth=1
	s_delay_alu instid0(SALU_CYCLE_1) | instskip(SKIP_3) | instid1(VALU_DEP_1)
	s_or_b32 exec_lo, exec_lo, s4
	s_waitcnt vmcnt(0)
	v_mul_f32_e32 v14, v9, v11
	s_mov_b32 s4, exec_lo
	v_cmpx_nge_f32_e32 0xc2fe0000, v14
	s_cbranch_execz .LBB8_3
; %bb.11:                               ;   in Loop: Header=BB8_4 Depth=1
	v_mov_b32_e32 v12, 15
	s_mov_b32 s5, exec_lo
	v_cmpx_nle_f32_e32 0x42e20000, v14
	s_cbranch_execz .LBB8_2
; %bb.12:                               ;   in Loop: Header=BB8_4 Depth=1
	v_dual_mov_b32 v12, 15 :: v_dual_mov_b32 v15, 0
	s_mov_b32 s6, 0
	.p2align	6
.LBB8_13:                               ;   Parent Loop BB8_4 Depth=1
                                        ; =>  This Inner Loop Header: Depth=2
	s_delay_alu instid0(VALU_DEP_1) | instskip(SKIP_3) | instid1(VALU_DEP_1)
	v_add_nc_u32_e32 v16, v15, v12
	s_getpc_b64 s[2:3]
	s_add_u32 s2, s2, _ZL13kvalues_iq4nl@rel32@lo+4
	s_addc_u32 s3, s3, _ZL13kvalues_iq4nl@rel32@hi+12
	v_lshrrev_b32_e32 v17, 31, v16
	s_delay_alu instid0(VALU_DEP_1) | instskip(NEXT) | instid1(VALU_DEP_1)
	v_add_nc_u32_e32 v16, v16, v17
	v_ashrrev_i32_e32 v18, 1, v16
	s_delay_alu instid0(VALU_DEP_1) | instskip(SKIP_1) | instid1(VALU_DEP_2)
	v_ashrrev_i32_e32 v17, 31, v18
	v_add_co_u32 v16, vcc_lo, v18, s2
	v_add_co_ci_u32_e32 v17, vcc_lo, s3, v17, vcc_lo
	global_load_i8 v16, v[16:17], off
	s_waitcnt vmcnt(0)
	v_cvt_f32_i32_e32 v16, v16
	s_delay_alu instid0(VALU_DEP_1) | instskip(SKIP_1) | instid1(VALU_DEP_1)
	v_cmp_lt_f32_e32 vcc_lo, v14, v16
	v_dual_cndmask_b32 v15, v18, v15 :: v_dual_cndmask_b32 v12, v12, v18
	v_sub_nc_u32_e32 v16, v12, v15
	s_delay_alu instid0(VALU_DEP_1) | instskip(SKIP_1) | instid1(SALU_CYCLE_1)
	v_cmp_gt_i32_e32 vcc_lo, 2, v16
	s_or_b32 s6, vcc_lo, s6
	s_and_not1_b32 exec_lo, exec_lo, s6
	s_cbranch_execnz .LBB8_13
; %bb.14:                               ;   in Loop: Header=BB8_4 Depth=1
	s_or_b32 exec_lo, exec_lo, s6
	v_add_nc_u32_e32 v19, -1, v12
	v_ashrrev_i32_e32 v18, 31, v12
	s_delay_alu instid0(VALU_DEP_2) | instskip(SKIP_1) | instid1(VALU_DEP_2)
	v_ashrrev_i32_e32 v16, 31, v19
	v_add_co_u32 v15, vcc_lo, v19, s2
	v_add_co_ci_u32_e32 v16, vcc_lo, s3, v16, vcc_lo
	v_add_co_u32 v17, vcc_lo, v12, s2
	v_add_co_ci_u32_e32 v18, vcc_lo, s3, v18, vcc_lo
	s_clause 0x1
	global_load_i8 v15, v[15:16], off
	global_load_i8 v16, v[17:18], off
	s_waitcnt vmcnt(1)
	v_cvt_f32_i32_e32 v15, v15
	s_waitcnt vmcnt(0)
	v_cvt_f32_i32_e32 v16, v16
	s_delay_alu instid0(VALU_DEP_1) | instskip(NEXT) | instid1(VALU_DEP_1)
	v_dual_sub_f32 v15, v14, v15 :: v_dual_sub_f32 v14, v16, v14
	v_cmp_lt_f32_e32 vcc_lo, v15, v14
	v_cndmask_b32_e32 v12, v12, v19, vcc_lo
	s_branch .LBB8_2
.LBB8_15:
	v_div_scale_f32 v2, null, v0, v0, v1
	s_delay_alu instid0(VALU_DEP_1) | instskip(SKIP_2) | instid1(VALU_DEP_1)
	v_rcp_f32_e32 v3, v2
	s_waitcnt_depctr 0xfff
	v_fma_f32 v7, -v2, v3, 1.0
	v_fmac_f32_e32 v3, v7, v3
	v_div_scale_f32 v7, vcc_lo, v1, v0, v1
	s_delay_alu instid0(VALU_DEP_1) | instskip(NEXT) | instid1(VALU_DEP_1)
	v_mul_f32_e32 v8, v7, v3
	v_fma_f32 v9, -v2, v8, v7
	s_delay_alu instid0(VALU_DEP_1) | instskip(NEXT) | instid1(VALU_DEP_1)
	v_fmac_f32_e32 v8, v9, v3
	v_fma_f32 v2, -v2, v8, v7
	s_delay_alu instid0(VALU_DEP_1) | instskip(SKIP_1) | instid1(VALU_DEP_2)
	v_div_fmas_f32 v2, v2, v3, v8
	v_cmp_lt_f32_e32 vcc_lo, 0, v0
	v_div_fixup_f32 v1, v2, v0, v1
	s_delay_alu instid0(VALU_DEP_1) | instskip(NEXT) | instid1(VALU_DEP_1)
	v_cndmask_b32_e32 v0, v6, v1, vcc_lo
	v_cvt_f16_f32_e32 v0, v0
	global_store_b16 v[4:5], v0, off
.LBB8_16:
	s_nop 0
	s_sendmsg sendmsg(MSG_DEALLOC_VGPRS)
	s_endpgm
	.section	.rodata,"a",@progbits
	.p2align	6, 0x0
	.amdhsa_kernel _ZL16k_set_rows_quantIl12block_iq4_nlLi32ETnPFvPKfPT0_EXadL_ZL25quantize_f32_iq4_nl_blockS2_PS0_EEEvS2_PKT_S4_llllllllllllll15HIP_vector_typeIjLj3EESC_SC_SC_SC_
		.amdhsa_group_segment_fixed_size 0
		.amdhsa_private_segment_fixed_size 0
		.amdhsa_kernarg_size 456
		.amdhsa_user_sgpr_count 15
		.amdhsa_user_sgpr_dispatch_ptr 0
		.amdhsa_user_sgpr_queue_ptr 0
		.amdhsa_user_sgpr_kernarg_segment_ptr 1
		.amdhsa_user_sgpr_dispatch_id 0
		.amdhsa_user_sgpr_private_segment_size 0
		.amdhsa_wavefront_size32 1
		.amdhsa_uses_dynamic_stack 0
		.amdhsa_enable_private_segment 0
		.amdhsa_system_sgpr_workgroup_id_x 1
		.amdhsa_system_sgpr_workgroup_id_y 0
		.amdhsa_system_sgpr_workgroup_id_z 0
		.amdhsa_system_sgpr_workgroup_info 0
		.amdhsa_system_vgpr_workitem_id 0
		.amdhsa_next_free_vgpr 41
		.amdhsa_next_free_sgpr 32
		.amdhsa_reserve_vcc 1
		.amdhsa_float_round_mode_32 0
		.amdhsa_float_round_mode_16_64 0
		.amdhsa_float_denorm_mode_32 3
		.amdhsa_float_denorm_mode_16_64 3
		.amdhsa_dx10_clamp 1
		.amdhsa_ieee_mode 1
		.amdhsa_fp16_overflow 0
		.amdhsa_workgroup_processor_mode 1
		.amdhsa_memory_ordered 1
		.amdhsa_forward_progress 0
		.amdhsa_shared_vgpr_count 0
		.amdhsa_exception_fp_ieee_invalid_op 0
		.amdhsa_exception_fp_denorm_src 0
		.amdhsa_exception_fp_ieee_div_zero 0
		.amdhsa_exception_fp_ieee_overflow 0
		.amdhsa_exception_fp_ieee_underflow 0
		.amdhsa_exception_fp_ieee_inexact 0
		.amdhsa_exception_int_div_zero 0
	.end_amdhsa_kernel
	.section	.text._ZL16k_set_rows_quantIl12block_iq4_nlLi32ETnPFvPKfPT0_EXadL_ZL25quantize_f32_iq4_nl_blockS2_PS0_EEEvS2_PKT_S4_llllllllllllll15HIP_vector_typeIjLj3EESC_SC_SC_SC_,"axG",@progbits,_ZL16k_set_rows_quantIl12block_iq4_nlLi32ETnPFvPKfPT0_EXadL_ZL25quantize_f32_iq4_nl_blockS2_PS0_EEEvS2_PKT_S4_llllllllllllll15HIP_vector_typeIjLj3EESC_SC_SC_SC_,comdat
.Lfunc_end8:
	.size	_ZL16k_set_rows_quantIl12block_iq4_nlLi32ETnPFvPKfPT0_EXadL_ZL25quantize_f32_iq4_nl_blockS2_PS0_EEEvS2_PKT_S4_llllllllllllll15HIP_vector_typeIjLj3EESC_SC_SC_SC_, .Lfunc_end8-_ZL16k_set_rows_quantIl12block_iq4_nlLi32ETnPFvPKfPT0_EXadL_ZL25quantize_f32_iq4_nl_blockS2_PS0_EEEvS2_PKT_S4_llllllllllllll15HIP_vector_typeIjLj3EESC_SC_SC_SC_
                                        ; -- End function
	.section	.AMDGPU.csdata,"",@progbits
; Kernel info:
; codeLenInByte = 3212
; NumSgprs: 34
; NumVgprs: 41
; ScratchSize: 0
; MemoryBound: 0
; FloatMode: 240
; IeeeMode: 1
; LDSByteSize: 0 bytes/workgroup (compile time only)
; SGPRBlocks: 4
; VGPRBlocks: 5
; NumSGPRsForWavesPerEU: 34
; NumVGPRsForWavesPerEU: 41
; Occupancy: 16
; WaveLimiterHint : 1
; COMPUTE_PGM_RSRC2:SCRATCH_EN: 0
; COMPUTE_PGM_RSRC2:USER_SGPR: 15
; COMPUTE_PGM_RSRC2:TRAP_HANDLER: 0
; COMPUTE_PGM_RSRC2:TGID_X_EN: 1
; COMPUTE_PGM_RSRC2:TGID_Y_EN: 0
; COMPUTE_PGM_RSRC2:TGID_Z_EN: 0
; COMPUTE_PGM_RSRC2:TIDIG_COMP_CNT: 0
	.section	.text._ZL10k_set_rowsIfifEvPKT_PKT0_PT1_llllllllllllll15HIP_vector_typeIjLj3EES9_S9_S9_S9_,"axG",@progbits,_ZL10k_set_rowsIfifEvPKT_PKT0_PT1_llllllllllllll15HIP_vector_typeIjLj3EES9_S9_S9_S9_,comdat
	.globl	_ZL10k_set_rowsIfifEvPKT_PKT0_PT1_llllllllllllll15HIP_vector_typeIjLj3EES9_S9_S9_S9_ ; -- Begin function _ZL10k_set_rowsIfifEvPKT_PKT0_PT1_llllllllllllll15HIP_vector_typeIjLj3EES9_S9_S9_S9_
	.p2align	8
	.type	_ZL10k_set_rowsIfifEvPKT_PKT0_PT1_llllllllllllll15HIP_vector_typeIjLj3EES9_S9_S9_S9_,@function
_ZL10k_set_rowsIfifEvPKT_PKT0_PT1_llllllllllllll15HIP_vector_typeIjLj3EES9_S9_S9_S9_: ; @_ZL10k_set_rowsIfifEvPKT_PKT0_PT1_llllllllllllll15HIP_vector_typeIjLj3EES9_S9_S9_S9_
; %bb.0:
	s_clause 0x1
	s_load_b32 s2, s[0:1], 0xd4
	s_load_b256 s[20:27], s[0:1], 0x0
	v_mov_b32_e32 v1, 0
	s_waitcnt lgkmcnt(0)
	s_and_b32 s2, s2, 0xffff
	s_delay_alu instid0(VALU_DEP_1) | instid1(SALU_CYCLE_1)
	v_mad_u64_u32 v[2:3], null, s2, s15, v[0:1]
	s_mov_b32 s2, exec_lo
	s_delay_alu instid0(VALU_DEP_1)
	v_cmpx_gt_i64_e64 s[26:27], v[2:3]
	s_cbranch_execz .LBB9_2
; %bb.1:
	s_clause 0x5
	s_load_b256 s[36:43], s[0:1], 0x88
	s_load_b128 s[28:31], s[0:1], 0xa8
	s_load_b64 s[2:3], s[0:1], 0xb8
	s_load_b32 s26, s[0:1], 0xc0
	s_load_b512 s[4:19], s[0:1], 0x40
	s_load_b64 s[0:1], s[0:1], 0x80
	s_waitcnt lgkmcnt(0)
	v_mul_hi_u32 v0, v2, s36
	s_delay_alu instid0(VALU_DEP_1) | instskip(NEXT) | instid1(VALU_DEP_1)
	v_add_nc_u32_e32 v0, v0, v2
	v_lshrrev_b32_e32 v13, s37, v0
	s_delay_alu instid0(VALU_DEP_1) | instskip(NEXT) | instid1(VALU_DEP_1)
	v_mul_hi_u32 v0, v13, s39
	v_add_nc_u32_e32 v0, v13, v0
	s_delay_alu instid0(VALU_DEP_1) | instskip(NEXT) | instid1(VALU_DEP_1)
	v_lshrrev_b32_e32 v0, s40, v0
	v_mul_hi_u32 v3, v0, s42
	s_delay_alu instid0(VALU_DEP_1) | instskip(NEXT) | instid1(VALU_DEP_1)
	v_add_nc_u32_e32 v3, v0, v3
	v_lshrrev_b32_e32 v14, s43, v3
	s_delay_alu instid0(VALU_DEP_1) | instskip(SKIP_1) | instid1(VALU_DEP_2)
	v_mul_lo_u32 v3, v14, s28
	v_mul_hi_u32 v4, v14, s2
	v_sub_nc_u32_e32 v15, v0, v3
	v_mul_lo_u32 v0, v0, s41
	s_delay_alu instid0(VALU_DEP_3) | instskip(NEXT) | instid1(VALU_DEP_3)
	v_add_nc_u32_e32 v4, v14, v4
	v_mul_hi_u32 v3, v15, s29
	s_delay_alu instid0(VALU_DEP_2) | instskip(NEXT) | instid1(VALU_DEP_4)
	v_lshrrev_b32_e32 v4, s3, v4
	v_sub_nc_u32_e32 v12, v13, v0
	s_delay_alu instid0(VALU_DEP_2) | instskip(NEXT) | instid1(VALU_DEP_4)
	v_mul_lo_u32 v0, v4, s26
	v_add_nc_u32_e32 v3, v15, v3
	s_delay_alu instid0(VALU_DEP_1) | instskip(NEXT) | instid1(VALU_DEP_3)
	v_lshrrev_b32_e32 v3, s30, v3
	v_sub_nc_u32_e32 v17, v14, v0
	s_delay_alu instid0(VALU_DEP_2) | instskip(SKIP_1) | instid1(VALU_DEP_3)
	v_mul_lo_u32 v5, v3, s31
	v_mad_u64_u32 v[3:4], null, v12, s10, 0
	v_mad_u64_u32 v[7:8], null, v17, s14, 0
	s_delay_alu instid0(VALU_DEP_3) | instskip(NEXT) | instid1(VALU_DEP_3)
	v_sub_nc_u32_e32 v16, v15, v5
	v_mov_b32_e32 v0, v4
	s_delay_alu instid0(VALU_DEP_2) | instskip(NEXT) | instid1(VALU_DEP_2)
	v_mad_u64_u32 v[5:6], null, v16, s12, 0
	v_mad_u64_u32 v[9:10], null, v12, s11, v[0:1]
	s_delay_alu instid0(VALU_DEP_2) | instskip(SKIP_1) | instid1(VALU_DEP_3)
	v_mov_b32_e32 v0, v6
	v_mov_b32_e32 v6, v8
	v_mov_b32_e32 v4, v9
	s_delay_alu instid0(VALU_DEP_3) | instskip(NEXT) | instid1(VALU_DEP_3)
	v_mad_u64_u32 v[10:11], null, v16, s13, v[0:1]
	v_mad_u64_u32 v[8:9], null, v17, s15, v[6:7]
	s_delay_alu instid0(VALU_DEP_3) | instskip(NEXT) | instid1(VALU_DEP_3)
	v_lshlrev_b64 v[3:4], 2, v[3:4]
	v_mov_b32_e32 v6, v10
	v_mad_u64_u32 v[9:10], null, v12, s4, 0
	s_delay_alu instid0(VALU_DEP_3) | instskip(NEXT) | instid1(VALU_DEP_3)
	v_add_co_u32 v0, vcc_lo, s22, v3
	v_lshlrev_b64 v[5:6], 2, v[5:6]
	v_add_co_ci_u32_e32 v11, vcc_lo, s23, v4, vcc_lo
	v_lshlrev_b64 v[3:4], 2, v[7:8]
	s_delay_alu instid0(VALU_DEP_3) | instskip(NEXT) | instid1(VALU_DEP_3)
	v_add_co_u32 v0, vcc_lo, v0, v5
	v_add_co_ci_u32_e32 v5, vcc_lo, v11, v6, vcc_lo
	s_delay_alu instid0(VALU_DEP_2) | instskip(NEXT) | instid1(VALU_DEP_2)
	v_add_co_u32 v3, vcc_lo, v0, v3
	v_add_co_ci_u32_e32 v4, vcc_lo, v5, v4, vcc_lo
	v_mad_u64_u32 v[5:6], null, v15, s6, 0
	v_mov_b32_e32 v0, v10
	global_load_b32 v16, v[3:4], off
	v_mad_u64_u32 v[3:4], null, v14, s8, 0
	v_mad_u64_u32 v[7:8], null, v12, s5, v[0:1]
	v_mov_b32_e32 v0, v6
	s_delay_alu instid0(VALU_DEP_1) | instskip(NEXT) | instid1(VALU_DEP_3)
	v_mad_u64_u32 v[11:12], null, v15, s7, v[0:1]
	v_mov_b32_e32 v10, v7
	v_mad_u64_u32 v[7:8], null, v14, s9, v[4:5]
	v_mul_lo_u32 v0, v13, s38
	s_delay_alu instid0(VALU_DEP_3) | instskip(SKIP_1) | instid1(VALU_DEP_4)
	v_lshlrev_b64 v[8:9], 2, v[9:10]
	v_mov_b32_e32 v6, v11
	v_mov_b32_e32 v4, v7
	s_delay_alu instid0(VALU_DEP_2) | instskip(NEXT) | instid1(VALU_DEP_4)
	v_lshlrev_b64 v[5:6], 2, v[5:6]
	v_add_co_u32 v7, vcc_lo, s20, v8
	v_add_co_ci_u32_e32 v8, vcc_lo, s21, v9, vcc_lo
	v_sub_nc_u32_e32 v0, v2, v0
	v_lshlrev_b64 v[2:3], 2, v[3:4]
	s_delay_alu instid0(VALU_DEP_4) | instskip(NEXT) | instid1(VALU_DEP_4)
	v_add_co_u32 v4, vcc_lo, v7, v5
	v_add_co_ci_u32_e32 v5, vcc_lo, v8, v6, vcc_lo
	s_delay_alu instid0(VALU_DEP_4) | instskip(NEXT) | instid1(VALU_DEP_3)
	v_lshlrev_b64 v[0:1], 2, v[0:1]
	v_add_co_u32 v2, vcc_lo, v4, v2
	s_delay_alu instid0(VALU_DEP_3) | instskip(SKIP_1) | instid1(VALU_DEP_3)
	v_add_co_ci_u32_e32 v3, vcc_lo, v5, v3, vcc_lo
	v_mad_u64_u32 v[4:5], null, v14, s0, 0
	v_add_co_u32 v2, vcc_lo, v2, v0
	s_delay_alu instid0(VALU_DEP_3)
	v_add_co_ci_u32_e32 v3, vcc_lo, v3, v1, vcc_lo
	global_load_b32 v11, v[2:3], off
	v_mad_u64_u32 v[2:3], null, v15, s18, 0
	s_waitcnt vmcnt(1)
	v_ashrrev_i32_e32 v8, 31, v16
	v_mul_lo_u32 v10, v16, s17
	v_mad_u64_u32 v[6:7], null, v16, s16, 0
	s_delay_alu instid0(VALU_DEP_3) | instskip(SKIP_1) | instid1(VALU_DEP_2)
	v_mul_lo_u32 v12, v8, s16
	v_mad_u64_u32 v[8:9], null, v15, s19, v[3:4]
	v_add3_u32 v7, v7, v10, v12
	s_delay_alu instid0(VALU_DEP_4) | instskip(NEXT) | instid1(VALU_DEP_3)
	v_mad_u64_u32 v[9:10], null, v14, s1, v[5:6]
	v_mov_b32_e32 v3, v8
	s_delay_alu instid0(VALU_DEP_3) | instskip(NEXT) | instid1(VALU_DEP_2)
	v_lshlrev_b64 v[6:7], 2, v[6:7]
	v_lshlrev_b64 v[2:3], 2, v[2:3]
	s_delay_alu instid0(VALU_DEP_4) | instskip(NEXT) | instid1(VALU_DEP_3)
	v_mov_b32_e32 v5, v9
	v_add_co_u32 v6, vcc_lo, s24, v6
	s_delay_alu instid0(VALU_DEP_4) | instskip(NEXT) | instid1(VALU_DEP_3)
	v_add_co_ci_u32_e32 v7, vcc_lo, s25, v7, vcc_lo
	v_lshlrev_b64 v[4:5], 2, v[4:5]
	s_delay_alu instid0(VALU_DEP_3) | instskip(NEXT) | instid1(VALU_DEP_3)
	v_add_co_u32 v2, vcc_lo, v6, v2
	v_add_co_ci_u32_e32 v3, vcc_lo, v7, v3, vcc_lo
	s_delay_alu instid0(VALU_DEP_2) | instskip(NEXT) | instid1(VALU_DEP_2)
	v_add_co_u32 v2, vcc_lo, v2, v4
	v_add_co_ci_u32_e32 v3, vcc_lo, v3, v5, vcc_lo
	s_delay_alu instid0(VALU_DEP_2) | instskip(NEXT) | instid1(VALU_DEP_2)
	v_add_co_u32 v0, vcc_lo, v2, v0
	v_add_co_ci_u32_e32 v1, vcc_lo, v3, v1, vcc_lo
	s_waitcnt vmcnt(0)
	global_store_b32 v[0:1], v11, off
.LBB9_2:
	s_nop 0
	s_sendmsg sendmsg(MSG_DEALLOC_VGPRS)
	s_endpgm
	.section	.rodata,"a",@progbits
	.p2align	6, 0x0
	.amdhsa_kernel _ZL10k_set_rowsIfifEvPKT_PKT0_PT1_llllllllllllll15HIP_vector_typeIjLj3EES9_S9_S9_S9_
		.amdhsa_group_segment_fixed_size 0
		.amdhsa_private_segment_fixed_size 0
		.amdhsa_kernarg_size 456
		.amdhsa_user_sgpr_count 15
		.amdhsa_user_sgpr_dispatch_ptr 0
		.amdhsa_user_sgpr_queue_ptr 0
		.amdhsa_user_sgpr_kernarg_segment_ptr 1
		.amdhsa_user_sgpr_dispatch_id 0
		.amdhsa_user_sgpr_private_segment_size 0
		.amdhsa_wavefront_size32 1
		.amdhsa_uses_dynamic_stack 0
		.amdhsa_enable_private_segment 0
		.amdhsa_system_sgpr_workgroup_id_x 1
		.amdhsa_system_sgpr_workgroup_id_y 0
		.amdhsa_system_sgpr_workgroup_id_z 0
		.amdhsa_system_sgpr_workgroup_info 0
		.amdhsa_system_vgpr_workitem_id 0
		.amdhsa_next_free_vgpr 18
		.amdhsa_next_free_sgpr 44
		.amdhsa_reserve_vcc 1
		.amdhsa_float_round_mode_32 0
		.amdhsa_float_round_mode_16_64 0
		.amdhsa_float_denorm_mode_32 3
		.amdhsa_float_denorm_mode_16_64 3
		.amdhsa_dx10_clamp 1
		.amdhsa_ieee_mode 1
		.amdhsa_fp16_overflow 0
		.amdhsa_workgroup_processor_mode 1
		.amdhsa_memory_ordered 1
		.amdhsa_forward_progress 0
		.amdhsa_shared_vgpr_count 0
		.amdhsa_exception_fp_ieee_invalid_op 0
		.amdhsa_exception_fp_denorm_src 0
		.amdhsa_exception_fp_ieee_div_zero 0
		.amdhsa_exception_fp_ieee_overflow 0
		.amdhsa_exception_fp_ieee_underflow 0
		.amdhsa_exception_fp_ieee_inexact 0
		.amdhsa_exception_int_div_zero 0
	.end_amdhsa_kernel
	.section	.text._ZL10k_set_rowsIfifEvPKT_PKT0_PT1_llllllllllllll15HIP_vector_typeIjLj3EES9_S9_S9_S9_,"axG",@progbits,_ZL10k_set_rowsIfifEvPKT_PKT0_PT1_llllllllllllll15HIP_vector_typeIjLj3EES9_S9_S9_S9_,comdat
.Lfunc_end9:
	.size	_ZL10k_set_rowsIfifEvPKT_PKT0_PT1_llllllllllllll15HIP_vector_typeIjLj3EES9_S9_S9_S9_, .Lfunc_end9-_ZL10k_set_rowsIfifEvPKT_PKT0_PT1_llllllllllllll15HIP_vector_typeIjLj3EES9_S9_S9_S9_
                                        ; -- End function
	.section	.AMDGPU.csdata,"",@progbits
; Kernel info:
; codeLenInByte = 864
; NumSgprs: 46
; NumVgprs: 18
; ScratchSize: 0
; MemoryBound: 0
; FloatMode: 240
; IeeeMode: 1
; LDSByteSize: 0 bytes/workgroup (compile time only)
; SGPRBlocks: 5
; VGPRBlocks: 2
; NumSGPRsForWavesPerEU: 46
; NumVGPRsForWavesPerEU: 18
; Occupancy: 16
; WaveLimiterHint : 1
; COMPUTE_PGM_RSRC2:SCRATCH_EN: 0
; COMPUTE_PGM_RSRC2:USER_SGPR: 15
; COMPUTE_PGM_RSRC2:TRAP_HANDLER: 0
; COMPUTE_PGM_RSRC2:TGID_X_EN: 1
; COMPUTE_PGM_RSRC2:TGID_Y_EN: 0
; COMPUTE_PGM_RSRC2:TGID_Z_EN: 0
; COMPUTE_PGM_RSRC2:TIDIG_COMP_CNT: 0
	.section	.text._ZL10k_set_rowsIfi6__halfEvPKT_PKT0_PT1_llllllllllllll15HIP_vector_typeIjLj3EESA_SA_SA_SA_,"axG",@progbits,_ZL10k_set_rowsIfi6__halfEvPKT_PKT0_PT1_llllllllllllll15HIP_vector_typeIjLj3EESA_SA_SA_SA_,comdat
	.globl	_ZL10k_set_rowsIfi6__halfEvPKT_PKT0_PT1_llllllllllllll15HIP_vector_typeIjLj3EESA_SA_SA_SA_ ; -- Begin function _ZL10k_set_rowsIfi6__halfEvPKT_PKT0_PT1_llllllllllllll15HIP_vector_typeIjLj3EESA_SA_SA_SA_
	.p2align	8
	.type	_ZL10k_set_rowsIfi6__halfEvPKT_PKT0_PT1_llllllllllllll15HIP_vector_typeIjLj3EESA_SA_SA_SA_,@function
_ZL10k_set_rowsIfi6__halfEvPKT_PKT0_PT1_llllllllllllll15HIP_vector_typeIjLj3EESA_SA_SA_SA_: ; @_ZL10k_set_rowsIfi6__halfEvPKT_PKT0_PT1_llllllllllllll15HIP_vector_typeIjLj3EESA_SA_SA_SA_
; %bb.0:
	s_clause 0x1
	s_load_b32 s2, s[0:1], 0xd4
	s_load_b256 s[20:27], s[0:1], 0x0
	v_mov_b32_e32 v1, 0
	s_waitcnt lgkmcnt(0)
	s_and_b32 s2, s2, 0xffff
	s_delay_alu instid0(VALU_DEP_1) | instid1(SALU_CYCLE_1)
	v_mad_u64_u32 v[2:3], null, s2, s15, v[0:1]
	s_mov_b32 s2, exec_lo
	s_delay_alu instid0(VALU_DEP_1)
	v_cmpx_gt_i64_e64 s[26:27], v[2:3]
	s_cbranch_execz .LBB10_2
; %bb.1:
	s_clause 0x5
	s_load_b256 s[36:43], s[0:1], 0x88
	s_load_b128 s[28:31], s[0:1], 0xa8
	s_load_b64 s[2:3], s[0:1], 0xb8
	s_load_b32 s26, s[0:1], 0xc0
	s_load_b512 s[4:19], s[0:1], 0x40
	s_load_b64 s[0:1], s[0:1], 0x80
	s_waitcnt lgkmcnt(0)
	v_mul_hi_u32 v0, v2, s36
	s_delay_alu instid0(VALU_DEP_1) | instskip(NEXT) | instid1(VALU_DEP_1)
	v_add_nc_u32_e32 v0, v0, v2
	v_lshrrev_b32_e32 v15, s37, v0
	s_delay_alu instid0(VALU_DEP_1) | instskip(NEXT) | instid1(VALU_DEP_1)
	v_mul_hi_u32 v0, v15, s39
	v_add_nc_u32_e32 v0, v15, v0
	s_delay_alu instid0(VALU_DEP_1) | instskip(NEXT) | instid1(VALU_DEP_1)
	v_lshrrev_b32_e32 v0, s40, v0
	v_mul_hi_u32 v3, v0, s42
	s_delay_alu instid0(VALU_DEP_1) | instskip(NEXT) | instid1(VALU_DEP_1)
	v_add_nc_u32_e32 v3, v0, v3
	v_lshrrev_b32_e32 v16, s43, v3
	s_delay_alu instid0(VALU_DEP_1) | instskip(SKIP_1) | instid1(VALU_DEP_2)
	v_mul_lo_u32 v3, v16, s28
	v_mul_hi_u32 v4, v16, s2
	v_sub_nc_u32_e32 v17, v0, v3
	v_mul_lo_u32 v0, v0, s41
	s_delay_alu instid0(VALU_DEP_3) | instskip(NEXT) | instid1(VALU_DEP_3)
	v_add_nc_u32_e32 v4, v16, v4
	v_mul_hi_u32 v3, v17, s29
	s_delay_alu instid0(VALU_DEP_2) | instskip(NEXT) | instid1(VALU_DEP_4)
	v_lshrrev_b32_e32 v4, s3, v4
	v_sub_nc_u32_e32 v18, v15, v0
	s_delay_alu instid0(VALU_DEP_2) | instskip(NEXT) | instid1(VALU_DEP_4)
	v_mul_lo_u32 v0, v4, s26
	v_add_nc_u32_e32 v3, v17, v3
	s_delay_alu instid0(VALU_DEP_1) | instskip(NEXT) | instid1(VALU_DEP_3)
	v_lshrrev_b32_e32 v3, s30, v3
	v_sub_nc_u32_e32 v13, v16, v0
	s_delay_alu instid0(VALU_DEP_2) | instskip(SKIP_1) | instid1(VALU_DEP_3)
	v_mul_lo_u32 v5, v3, s31
	v_mad_u64_u32 v[3:4], null, v18, s10, 0
	v_mad_u64_u32 v[7:8], null, v13, s14, 0
	s_delay_alu instid0(VALU_DEP_3) | instskip(NEXT) | instid1(VALU_DEP_3)
	v_sub_nc_u32_e32 v12, v17, v5
	v_mov_b32_e32 v0, v4
	s_delay_alu instid0(VALU_DEP_2) | instskip(NEXT) | instid1(VALU_DEP_2)
	v_mad_u64_u32 v[5:6], null, v12, s12, 0
	v_mad_u64_u32 v[9:10], null, v18, s11, v[0:1]
	s_delay_alu instid0(VALU_DEP_2) | instskip(SKIP_1) | instid1(VALU_DEP_3)
	v_mov_b32_e32 v0, v6
	v_mov_b32_e32 v6, v8
	;; [unrolled: 1-line block ×3, first 2 shown]
	s_delay_alu instid0(VALU_DEP_3) | instskip(NEXT) | instid1(VALU_DEP_3)
	v_mad_u64_u32 v[10:11], null, v12, s13, v[0:1]
	v_mad_u64_u32 v[8:9], null, v13, s15, v[6:7]
	s_delay_alu instid0(VALU_DEP_3) | instskip(SKIP_3) | instid1(VALU_DEP_4)
	v_lshlrev_b64 v[3:4], 2, v[3:4]
	v_mad_u64_u32 v[11:12], null, v18, s4, 0
	v_mad_u64_u32 v[13:14], null, v16, s8, 0
	v_mov_b32_e32 v6, v10
	v_add_co_u32 v0, vcc_lo, s22, v3
	v_add_co_ci_u32_e32 v19, vcc_lo, s23, v4, vcc_lo
	s_delay_alu instid0(VALU_DEP_3) | instskip(SKIP_2) | instid1(VALU_DEP_3)
	v_lshlrev_b64 v[5:6], 2, v[5:6]
	v_lshlrev_b64 v[3:4], 2, v[7:8]
	v_mad_u64_u32 v[9:10], null, v17, s6, 0
	v_add_co_u32 v5, vcc_lo, v0, v5
	s_delay_alu instid0(VALU_DEP_4) | instskip(SKIP_1) | instid1(VALU_DEP_3)
	v_add_co_ci_u32_e32 v6, vcc_lo, v19, v6, vcc_lo
	v_mov_b32_e32 v0, v12
	v_add_co_u32 v3, vcc_lo, v5, v3
	s_delay_alu instid0(VALU_DEP_3) | instskip(NEXT) | instid1(VALU_DEP_3)
	v_add_co_ci_u32_e32 v4, vcc_lo, v6, v4, vcc_lo
	v_mad_u64_u32 v[6:7], null, v18, s5, v[0:1]
	v_mov_b32_e32 v5, v10
	global_load_b32 v8, v[3:4], off
	v_mov_b32_e32 v0, v14
	v_mul_lo_u32 v7, v15, s38
	v_mad_u64_u32 v[3:4], null, v17, s7, v[5:6]
	v_mov_b32_e32 v12, v6
	s_delay_alu instid0(VALU_DEP_4) | instskip(NEXT) | instid1(VALU_DEP_4)
	v_mad_u64_u32 v[4:5], null, v16, s9, v[0:1]
	v_sub_nc_u32_e32 v0, v2, v7
	s_delay_alu instid0(VALU_DEP_3) | instskip(SKIP_1) | instid1(VALU_DEP_4)
	v_lshlrev_b64 v[5:6], 2, v[11:12]
	v_mov_b32_e32 v10, v3
	v_mov_b32_e32 v14, v4
	s_delay_alu instid0(VALU_DEP_2) | instskip(NEXT) | instid1(VALU_DEP_4)
	v_lshlrev_b64 v[2:3], 2, v[9:10]
	v_add_co_u32 v7, vcc_lo, s20, v5
	v_add_co_ci_u32_e32 v6, vcc_lo, s21, v6, vcc_lo
	s_delay_alu instid0(VALU_DEP_4) | instskip(NEXT) | instid1(VALU_DEP_3)
	v_lshlrev_b64 v[4:5], 2, v[13:14]
	v_add_co_u32 v7, vcc_lo, v7, v2
	s_delay_alu instid0(VALU_DEP_3) | instskip(SKIP_1) | instid1(VALU_DEP_3)
	v_add_co_ci_u32_e32 v6, vcc_lo, v6, v3, vcc_lo
	v_lshlrev_b64 v[2:3], 2, v[0:1]
	v_add_co_u32 v4, vcc_lo, v7, v4
	s_delay_alu instid0(VALU_DEP_3) | instskip(SKIP_1) | instid1(VALU_DEP_3)
	v_add_co_ci_u32_e32 v5, vcc_lo, v6, v5, vcc_lo
	v_lshlrev_b64 v[0:1], 1, v[0:1]
	v_add_co_u32 v2, vcc_lo, v4, v2
	s_delay_alu instid0(VALU_DEP_3)
	v_add_co_ci_u32_e32 v3, vcc_lo, v5, v3, vcc_lo
	v_mad_u64_u32 v[4:5], null, v16, s0, 0
	global_load_b32 v11, v[2:3], off
	v_mad_u64_u32 v[2:3], null, v17, s18, 0
	s_waitcnt vmcnt(1)
	v_ashrrev_i32_e32 v9, 31, v8
	v_mul_lo_u32 v10, v8, s17
	v_mad_u64_u32 v[6:7], null, v8, s16, 0
	s_delay_alu instid0(VALU_DEP_3) | instskip(SKIP_1) | instid1(VALU_DEP_2)
	v_mul_lo_u32 v12, v9, s16
	v_mad_u64_u32 v[8:9], null, v17, s19, v[3:4]
	v_add3_u32 v7, v7, v10, v12
	s_delay_alu instid0(VALU_DEP_4) | instskip(NEXT) | instid1(VALU_DEP_3)
	v_mad_u64_u32 v[9:10], null, v16, s1, v[5:6]
	v_mov_b32_e32 v3, v8
	s_delay_alu instid0(VALU_DEP_3) | instskip(NEXT) | instid1(VALU_DEP_2)
	v_lshlrev_b64 v[6:7], 1, v[6:7]
	v_lshlrev_b64 v[2:3], 1, v[2:3]
	s_delay_alu instid0(VALU_DEP_4) | instskip(NEXT) | instid1(VALU_DEP_3)
	v_mov_b32_e32 v5, v9
	v_add_co_u32 v6, vcc_lo, s24, v6
	s_delay_alu instid0(VALU_DEP_4) | instskip(NEXT) | instid1(VALU_DEP_3)
	v_add_co_ci_u32_e32 v7, vcc_lo, s25, v7, vcc_lo
	v_lshlrev_b64 v[4:5], 1, v[4:5]
	s_delay_alu instid0(VALU_DEP_3) | instskip(NEXT) | instid1(VALU_DEP_3)
	v_add_co_u32 v2, vcc_lo, v6, v2
	v_add_co_ci_u32_e32 v3, vcc_lo, v7, v3, vcc_lo
	s_delay_alu instid0(VALU_DEP_2) | instskip(NEXT) | instid1(VALU_DEP_2)
	v_add_co_u32 v2, vcc_lo, v2, v4
	v_add_co_ci_u32_e32 v3, vcc_lo, v3, v5, vcc_lo
	s_delay_alu instid0(VALU_DEP_2) | instskip(SKIP_2) | instid1(VALU_DEP_3)
	v_add_co_u32 v0, vcc_lo, v2, v0
	s_waitcnt vmcnt(0)
	v_cvt_f16_f32_e32 v4, v11
	v_add_co_ci_u32_e32 v1, vcc_lo, v3, v1, vcc_lo
	global_store_b16 v[0:1], v4, off
.LBB10_2:
	s_nop 0
	s_sendmsg sendmsg(MSG_DEALLOC_VGPRS)
	s_endpgm
	.section	.rodata,"a",@progbits
	.p2align	6, 0x0
	.amdhsa_kernel _ZL10k_set_rowsIfi6__halfEvPKT_PKT0_PT1_llllllllllllll15HIP_vector_typeIjLj3EESA_SA_SA_SA_
		.amdhsa_group_segment_fixed_size 0
		.amdhsa_private_segment_fixed_size 0
		.amdhsa_kernarg_size 456
		.amdhsa_user_sgpr_count 15
		.amdhsa_user_sgpr_dispatch_ptr 0
		.amdhsa_user_sgpr_queue_ptr 0
		.amdhsa_user_sgpr_kernarg_segment_ptr 1
		.amdhsa_user_sgpr_dispatch_id 0
		.amdhsa_user_sgpr_private_segment_size 0
		.amdhsa_wavefront_size32 1
		.amdhsa_uses_dynamic_stack 0
		.amdhsa_enable_private_segment 0
		.amdhsa_system_sgpr_workgroup_id_x 1
		.amdhsa_system_sgpr_workgroup_id_y 0
		.amdhsa_system_sgpr_workgroup_id_z 0
		.amdhsa_system_sgpr_workgroup_info 0
		.amdhsa_system_vgpr_workitem_id 0
		.amdhsa_next_free_vgpr 20
		.amdhsa_next_free_sgpr 44
		.amdhsa_reserve_vcc 1
		.amdhsa_float_round_mode_32 0
		.amdhsa_float_round_mode_16_64 0
		.amdhsa_float_denorm_mode_32 3
		.amdhsa_float_denorm_mode_16_64 3
		.amdhsa_dx10_clamp 1
		.amdhsa_ieee_mode 1
		.amdhsa_fp16_overflow 0
		.amdhsa_workgroup_processor_mode 1
		.amdhsa_memory_ordered 1
		.amdhsa_forward_progress 0
		.amdhsa_shared_vgpr_count 0
		.amdhsa_exception_fp_ieee_invalid_op 0
		.amdhsa_exception_fp_denorm_src 0
		.amdhsa_exception_fp_ieee_div_zero 0
		.amdhsa_exception_fp_ieee_overflow 0
		.amdhsa_exception_fp_ieee_underflow 0
		.amdhsa_exception_fp_ieee_inexact 0
		.amdhsa_exception_int_div_zero 0
	.end_amdhsa_kernel
	.section	.text._ZL10k_set_rowsIfi6__halfEvPKT_PKT0_PT1_llllllllllllll15HIP_vector_typeIjLj3EESA_SA_SA_SA_,"axG",@progbits,_ZL10k_set_rowsIfi6__halfEvPKT_PKT0_PT1_llllllllllllll15HIP_vector_typeIjLj3EESA_SA_SA_SA_,comdat
.Lfunc_end10:
	.size	_ZL10k_set_rowsIfi6__halfEvPKT_PKT0_PT1_llllllllllllll15HIP_vector_typeIjLj3EESA_SA_SA_SA_, .Lfunc_end10-_ZL10k_set_rowsIfi6__halfEvPKT_PKT0_PT1_llllllllllllll15HIP_vector_typeIjLj3EESA_SA_SA_SA_
                                        ; -- End function
	.section	.AMDGPU.csdata,"",@progbits
; Kernel info:
; codeLenInByte = 880
; NumSgprs: 46
; NumVgprs: 20
; ScratchSize: 0
; MemoryBound: 0
; FloatMode: 240
; IeeeMode: 1
; LDSByteSize: 0 bytes/workgroup (compile time only)
; SGPRBlocks: 5
; VGPRBlocks: 2
; NumSGPRsForWavesPerEU: 46
; NumVGPRsForWavesPerEU: 20
; Occupancy: 16
; WaveLimiterHint : 1
; COMPUTE_PGM_RSRC2:SCRATCH_EN: 0
; COMPUTE_PGM_RSRC2:USER_SGPR: 15
; COMPUTE_PGM_RSRC2:TRAP_HANDLER: 0
; COMPUTE_PGM_RSRC2:TGID_X_EN: 1
; COMPUTE_PGM_RSRC2:TGID_Y_EN: 0
; COMPUTE_PGM_RSRC2:TGID_Z_EN: 0
; COMPUTE_PGM_RSRC2:TIDIG_COMP_CNT: 0
	.section	.text._ZL10k_set_rowsIfi14__hip_bfloat16EvPKT_PKT0_PT1_llllllllllllll15HIP_vector_typeIjLj3EESA_SA_SA_SA_,"axG",@progbits,_ZL10k_set_rowsIfi14__hip_bfloat16EvPKT_PKT0_PT1_llllllllllllll15HIP_vector_typeIjLj3EESA_SA_SA_SA_,comdat
	.globl	_ZL10k_set_rowsIfi14__hip_bfloat16EvPKT_PKT0_PT1_llllllllllllll15HIP_vector_typeIjLj3EESA_SA_SA_SA_ ; -- Begin function _ZL10k_set_rowsIfi14__hip_bfloat16EvPKT_PKT0_PT1_llllllllllllll15HIP_vector_typeIjLj3EESA_SA_SA_SA_
	.p2align	8
	.type	_ZL10k_set_rowsIfi14__hip_bfloat16EvPKT_PKT0_PT1_llllllllllllll15HIP_vector_typeIjLj3EESA_SA_SA_SA_,@function
_ZL10k_set_rowsIfi14__hip_bfloat16EvPKT_PKT0_PT1_llllllllllllll15HIP_vector_typeIjLj3EESA_SA_SA_SA_: ; @_ZL10k_set_rowsIfi14__hip_bfloat16EvPKT_PKT0_PT1_llllllllllllll15HIP_vector_typeIjLj3EESA_SA_SA_SA_
; %bb.0:
	s_clause 0x1
	s_load_b32 s2, s[0:1], 0xd4
	s_load_b256 s[20:27], s[0:1], 0x0
	v_mov_b32_e32 v1, 0
	s_waitcnt lgkmcnt(0)
	s_and_b32 s2, s2, 0xffff
	s_delay_alu instid0(VALU_DEP_1) | instid1(SALU_CYCLE_1)
	v_mad_u64_u32 v[2:3], null, s2, s15, v[0:1]
	s_mov_b32 s2, exec_lo
	s_delay_alu instid0(VALU_DEP_1)
	v_cmpx_gt_i64_e64 s[26:27], v[2:3]
	s_cbranch_execz .LBB11_6
; %bb.1:
	s_clause 0x4
	s_load_b256 s[36:43], s[0:1], 0x88
	s_load_b128 s[28:31], s[0:1], 0xa8
	s_load_b32 s26, s[0:1], 0xc0
	s_load_b64 s[2:3], s[0:1], 0xb8
	s_load_b512 s[4:19], s[0:1], 0x40
	s_waitcnt lgkmcnt(0)
	v_mul_hi_u32 v0, v2, s36
	s_delay_alu instid0(VALU_DEP_1) | instskip(NEXT) | instid1(VALU_DEP_1)
	v_add_nc_u32_e32 v0, v0, v2
	v_lshrrev_b32_e32 v0, s37, v0
	s_delay_alu instid0(VALU_DEP_1) | instskip(SKIP_1) | instid1(VALU_DEP_2)
	v_mul_hi_u32 v3, v0, s39
	v_mul_lo_u32 v6, v0, s38
	v_add_nc_u32_e32 v3, v0, v3
	s_delay_alu instid0(VALU_DEP_1) | instskip(NEXT) | instid1(VALU_DEP_1)
	v_lshrrev_b32_e32 v4, s40, v3
	v_mul_hi_u32 v3, v4, s42
	v_mul_lo_u32 v5, v4, s41
	s_delay_alu instid0(VALU_DEP_2) | instskip(NEXT) | instid1(VALU_DEP_2)
	v_add_nc_u32_e32 v3, v4, v3
	v_sub_nc_u32_e32 v17, v0, v5
	v_sub_nc_u32_e32 v0, v2, v6
	s_delay_alu instid0(VALU_DEP_3) | instskip(NEXT) | instid1(VALU_DEP_2)
	v_lshrrev_b32_e32 v3, s43, v3
	v_lshlrev_b64 v[8:9], 2, v[0:1]
	s_delay_alu instid0(VALU_DEP_2) | instskip(SKIP_1) | instid1(VALU_DEP_2)
	v_mul_lo_u32 v7, v3, s28
	v_mul_hi_u32 v10, v3, s2
	v_sub_nc_u32_e32 v2, v4, v7
	s_delay_alu instid0(VALU_DEP_2) | instskip(SKIP_2) | instid1(VALU_DEP_4)
	v_add_nc_u32_e32 v13, v3, v10
	v_mad_u64_u32 v[6:7], null, v17, s4, 0
	v_mad_u64_u32 v[4:5], null, v17, s10, 0
	v_mul_hi_u32 v12, v2, s29
	s_delay_alu instid0(VALU_DEP_4) | instskip(SKIP_2) | instid1(VALU_DEP_3)
	v_lshrrev_b32_e32 v16, s3, v13
	v_mad_u64_u32 v[10:11], null, v3, s8, 0
	v_mad_u64_u32 v[14:15], null, v17, s5, v[7:8]
	v_mul_lo_u32 v19, v16, s26
	v_mad_u64_u32 v[15:16], null, v17, s11, v[5:6]
	v_add_nc_u32_e32 v18, v2, v12
	v_mad_u64_u32 v[12:13], null, v2, s6, 0
	v_mov_b32_e32 v7, v11
	v_sub_nc_u32_e32 v20, v3, v19
	s_delay_alu instid0(VALU_DEP_2) | instskip(NEXT) | instid1(VALU_DEP_4)
	v_mad_u64_u32 v[16:17], null, v3, s9, v[7:8]
	v_mov_b32_e32 v5, v13
	v_lshrrev_b32_e32 v18, s30, v18
	v_mov_b32_e32 v7, v14
	s_delay_alu instid0(VALU_DEP_3) | instskip(NEXT) | instid1(VALU_DEP_3)
	v_mad_u64_u32 v[13:14], null, v2, s7, v[5:6]
	v_mul_lo_u32 v11, v18, s31
	v_mad_u64_u32 v[17:18], null, v20, s14, 0
	v_mov_b32_e32 v5, v15
	v_lshlrev_b64 v[6:7], 2, v[6:7]
	v_lshlrev_b64 v[12:13], 2, v[12:13]
	v_sub_nc_u32_e32 v21, v2, v11
	v_mov_b32_e32 v11, v16
	s_delay_alu instid0(VALU_DEP_4) | instskip(SKIP_1) | instid1(VALU_DEP_4)
	v_add_co_u32 v22, vcc_lo, s20, v6
	v_mov_b32_e32 v16, v18
	v_mad_u64_u32 v[14:15], null, v21, s12, 0
	v_add_co_ci_u32_e32 v7, vcc_lo, s21, v7, vcc_lo
	v_lshlrev_b64 v[10:11], 2, v[10:11]
	s_delay_alu instid0(VALU_DEP_4) | instskip(SKIP_2) | instid1(VALU_DEP_1)
	v_mad_u64_u32 v[18:19], null, v20, s15, v[16:17]
	v_lshlrev_b64 v[4:5], 2, v[4:5]
	v_mov_b32_e32 v6, v15
	v_mad_u64_u32 v[15:16], null, v21, s13, v[6:7]
	v_add_co_u32 v6, vcc_lo, v22, v12
	v_add_co_ci_u32_e32 v7, vcc_lo, v7, v13, vcc_lo
	s_delay_alu instid0(VALU_DEP_2) | instskip(NEXT) | instid1(VALU_DEP_2)
	v_add_co_u32 v6, vcc_lo, v6, v10
	v_add_co_ci_u32_e32 v7, vcc_lo, v7, v11, vcc_lo
	s_delay_alu instid0(VALU_DEP_2) | instskip(NEXT) | instid1(VALU_DEP_2)
	v_add_co_u32 v6, vcc_lo, v6, v8
	v_add_co_ci_u32_e32 v7, vcc_lo, v7, v9, vcc_lo
	v_lshlrev_b64 v[8:9], 2, v[14:15]
	v_add_co_u32 v10, vcc_lo, s22, v4
	v_add_co_ci_u32_e32 v11, vcc_lo, s23, v5, vcc_lo
	v_lshlrev_b64 v[4:5], 2, v[17:18]
	global_load_b32 v6, v[6:7], off
	v_add_co_u32 v7, vcc_lo, v10, v8
	v_add_co_ci_u32_e32 v8, vcc_lo, v11, v9, vcc_lo
	s_delay_alu instid0(VALU_DEP_2) | instskip(NEXT) | instid1(VALU_DEP_2)
	v_add_co_u32 v4, vcc_lo, v7, v4
	v_add_co_ci_u32_e32 v5, vcc_lo, v8, v5, vcc_lo
	global_load_b32 v5, v[4:5], off
	s_waitcnt vmcnt(1)
	v_and_b32_e32 v4, 0x7f800000, v6
	s_delay_alu instid0(VALU_DEP_1) | instskip(SKIP_1) | instid1(SALU_CYCLE_1)
	v_cmp_ne_u32_e32 vcc_lo, 0x7f800000, v4
                                        ; implicit-def: $vgpr4
	s_and_saveexec_b32 s2, vcc_lo
	s_xor_b32 s2, exec_lo, s2
; %bb.2:
	v_bfe_u32 v4, v6, 16, 1
	s_delay_alu instid0(VALU_DEP_1)
	v_add3_u32 v4, v6, v4, 0x7fff
                                        ; implicit-def: $vgpr6
; %bb.3:
	s_and_not1_saveexec_b32 s2, s2
; %bb.4:
	v_and_b32_e32 v4, 0xffff, v6
	v_or_b32_e32 v7, 0x10000, v6
	s_delay_alu instid0(VALU_DEP_2) | instskip(NEXT) | instid1(VALU_DEP_2)
	v_cmp_eq_u32_e32 vcc_lo, 0, v4
	v_cndmask_b32_e32 v4, v7, v6, vcc_lo
; %bb.5:
	s_or_b32 exec_lo, exec_lo, s2
	s_load_b64 s[0:1], s[0:1], 0x80
	v_mad_u64_u32 v[6:7], null, v2, s18, 0
	s_waitcnt vmcnt(0)
	v_ashrrev_i32_e32 v12, 31, v5
	v_mul_lo_u32 v14, v5, s17
	v_mad_u64_u32 v[10:11], null, v5, s16, 0
	v_lshlrev_b64 v[0:1], 1, v[0:1]
	s_waitcnt lgkmcnt(0)
	v_mad_u64_u32 v[8:9], null, v3, s0, 0
	v_mov_b32_e32 v5, v7
	v_mul_lo_u32 v7, v12, s16
	s_delay_alu instid0(VALU_DEP_2) | instskip(NEXT) | instid1(VALU_DEP_4)
	v_mad_u64_u32 v[12:13], null, v2, s19, v[5:6]
	v_mov_b32_e32 v2, v9
	s_delay_alu instid0(VALU_DEP_3) | instskip(NEXT) | instid1(VALU_DEP_2)
	v_add3_u32 v11, v11, v14, v7
	v_mad_u64_u32 v[13:14], null, v3, s1, v[2:3]
	s_delay_alu instid0(VALU_DEP_4) | instskip(NEXT) | instid1(VALU_DEP_3)
	v_mov_b32_e32 v7, v12
	v_lshlrev_b64 v[2:3], 1, v[10:11]
	s_delay_alu instid0(VALU_DEP_2) | instskip(NEXT) | instid1(VALU_DEP_4)
	v_lshlrev_b64 v[5:6], 1, v[6:7]
	v_mov_b32_e32 v9, v13
	s_delay_alu instid0(VALU_DEP_3) | instskip(NEXT) | instid1(VALU_DEP_4)
	v_add_co_u32 v7, vcc_lo, s24, v2
	v_add_co_ci_u32_e32 v10, vcc_lo, s25, v3, vcc_lo
	s_delay_alu instid0(VALU_DEP_3) | instskip(NEXT) | instid1(VALU_DEP_3)
	v_lshlrev_b64 v[2:3], 1, v[8:9]
	v_add_co_u32 v5, vcc_lo, v7, v5
	s_delay_alu instid0(VALU_DEP_3) | instskip(NEXT) | instid1(VALU_DEP_2)
	v_add_co_ci_u32_e32 v6, vcc_lo, v10, v6, vcc_lo
	v_add_co_u32 v2, vcc_lo, v5, v2
	s_delay_alu instid0(VALU_DEP_2) | instskip(NEXT) | instid1(VALU_DEP_2)
	v_add_co_ci_u32_e32 v3, vcc_lo, v6, v3, vcc_lo
	v_add_co_u32 v0, vcc_lo, v2, v0
	s_delay_alu instid0(VALU_DEP_2)
	v_add_co_ci_u32_e32 v1, vcc_lo, v3, v1, vcc_lo
	global_store_d16_hi_b16 v[0:1], v4, off
.LBB11_6:
	s_nop 0
	s_sendmsg sendmsg(MSG_DEALLOC_VGPRS)
	s_endpgm
	.section	.rodata,"a",@progbits
	.p2align	6, 0x0
	.amdhsa_kernel _ZL10k_set_rowsIfi14__hip_bfloat16EvPKT_PKT0_PT1_llllllllllllll15HIP_vector_typeIjLj3EESA_SA_SA_SA_
		.amdhsa_group_segment_fixed_size 0
		.amdhsa_private_segment_fixed_size 0
		.amdhsa_kernarg_size 456
		.amdhsa_user_sgpr_count 15
		.amdhsa_user_sgpr_dispatch_ptr 0
		.amdhsa_user_sgpr_queue_ptr 0
		.amdhsa_user_sgpr_kernarg_segment_ptr 1
		.amdhsa_user_sgpr_dispatch_id 0
		.amdhsa_user_sgpr_private_segment_size 0
		.amdhsa_wavefront_size32 1
		.amdhsa_uses_dynamic_stack 0
		.amdhsa_enable_private_segment 0
		.amdhsa_system_sgpr_workgroup_id_x 1
		.amdhsa_system_sgpr_workgroup_id_y 0
		.amdhsa_system_sgpr_workgroup_id_z 0
		.amdhsa_system_sgpr_workgroup_info 0
		.amdhsa_system_vgpr_workitem_id 0
		.amdhsa_next_free_vgpr 23
		.amdhsa_next_free_sgpr 44
		.amdhsa_reserve_vcc 1
		.amdhsa_float_round_mode_32 0
		.amdhsa_float_round_mode_16_64 0
		.amdhsa_float_denorm_mode_32 3
		.amdhsa_float_denorm_mode_16_64 3
		.amdhsa_dx10_clamp 1
		.amdhsa_ieee_mode 1
		.amdhsa_fp16_overflow 0
		.amdhsa_workgroup_processor_mode 1
		.amdhsa_memory_ordered 1
		.amdhsa_forward_progress 0
		.amdhsa_shared_vgpr_count 0
		.amdhsa_exception_fp_ieee_invalid_op 0
		.amdhsa_exception_fp_denorm_src 0
		.amdhsa_exception_fp_ieee_div_zero 0
		.amdhsa_exception_fp_ieee_overflow 0
		.amdhsa_exception_fp_ieee_underflow 0
		.amdhsa_exception_fp_ieee_inexact 0
		.amdhsa_exception_int_div_zero 0
	.end_amdhsa_kernel
	.section	.text._ZL10k_set_rowsIfi14__hip_bfloat16EvPKT_PKT0_PT1_llllllllllllll15HIP_vector_typeIjLj3EESA_SA_SA_SA_,"axG",@progbits,_ZL10k_set_rowsIfi14__hip_bfloat16EvPKT_PKT0_PT1_llllllllllllll15HIP_vector_typeIjLj3EESA_SA_SA_SA_,comdat
.Lfunc_end11:
	.size	_ZL10k_set_rowsIfi14__hip_bfloat16EvPKT_PKT0_PT1_llllllllllllll15HIP_vector_typeIjLj3EESA_SA_SA_SA_, .Lfunc_end11-_ZL10k_set_rowsIfi14__hip_bfloat16EvPKT_PKT0_PT1_llllllllllllll15HIP_vector_typeIjLj3EESA_SA_SA_SA_
                                        ; -- End function
	.section	.AMDGPU.csdata,"",@progbits
; Kernel info:
; codeLenInByte = 924
; NumSgprs: 46
; NumVgprs: 23
; ScratchSize: 0
; MemoryBound: 0
; FloatMode: 240
; IeeeMode: 1
; LDSByteSize: 0 bytes/workgroup (compile time only)
; SGPRBlocks: 5
; VGPRBlocks: 2
; NumSGPRsForWavesPerEU: 46
; NumVGPRsForWavesPerEU: 23
; Occupancy: 16
; WaveLimiterHint : 1
; COMPUTE_PGM_RSRC2:SCRATCH_EN: 0
; COMPUTE_PGM_RSRC2:USER_SGPR: 15
; COMPUTE_PGM_RSRC2:TRAP_HANDLER: 0
; COMPUTE_PGM_RSRC2:TGID_X_EN: 1
; COMPUTE_PGM_RSRC2:TGID_Y_EN: 0
; COMPUTE_PGM_RSRC2:TGID_Z_EN: 0
; COMPUTE_PGM_RSRC2:TIDIG_COMP_CNT: 0
	.section	.text._ZL16k_set_rows_quantIi10block_q4_0Li32ETnPFvPKfPT0_EXadL_ZL23quantize_f32_q4_0_blockS2_PS0_EEEvS2_PKT_S4_llllllllllllll15HIP_vector_typeIjLj3EESC_SC_SC_SC_,"axG",@progbits,_ZL16k_set_rows_quantIi10block_q4_0Li32ETnPFvPKfPT0_EXadL_ZL23quantize_f32_q4_0_blockS2_PS0_EEEvS2_PKT_S4_llllllllllllll15HIP_vector_typeIjLj3EESC_SC_SC_SC_,comdat
	.globl	_ZL16k_set_rows_quantIi10block_q4_0Li32ETnPFvPKfPT0_EXadL_ZL23quantize_f32_q4_0_blockS2_PS0_EEEvS2_PKT_S4_llllllllllllll15HIP_vector_typeIjLj3EESC_SC_SC_SC_ ; -- Begin function _ZL16k_set_rows_quantIi10block_q4_0Li32ETnPFvPKfPT0_EXadL_ZL23quantize_f32_q4_0_blockS2_PS0_EEEvS2_PKT_S4_llllllllllllll15HIP_vector_typeIjLj3EESC_SC_SC_SC_
	.p2align	8
	.type	_ZL16k_set_rows_quantIi10block_q4_0Li32ETnPFvPKfPT0_EXadL_ZL23quantize_f32_q4_0_blockS2_PS0_EEEvS2_PKT_S4_llllllllllllll15HIP_vector_typeIjLj3EESC_SC_SC_SC_,@function
_ZL16k_set_rows_quantIi10block_q4_0Li32ETnPFvPKfPT0_EXadL_ZL23quantize_f32_q4_0_blockS2_PS0_EEEvS2_PKT_S4_llllllllllllll15HIP_vector_typeIjLj3EESC_SC_SC_SC_: ; @_ZL16k_set_rows_quantIi10block_q4_0Li32ETnPFvPKfPT0_EXadL_ZL23quantize_f32_q4_0_blockS2_PS0_EEEvS2_PKT_S4_llllllllllllll15HIP_vector_typeIjLj3EESC_SC_SC_SC_
; %bb.0:
	s_clause 0x1
	s_load_b32 s4, s[0:1], 0xd4
	s_load_b64 s[2:3], s[0:1], 0x18
	v_mov_b32_e32 v1, 0
	s_waitcnt lgkmcnt(0)
	s_and_b32 s4, s4, 0xffff
	s_delay_alu instid0(VALU_DEP_1) | instid1(SALU_CYCLE_1)
	v_mad_u64_u32 v[2:3], null, s4, s15, v[0:1]
	s_delay_alu instid0(VALU_DEP_1)
	v_cmp_gt_i64_e32 vcc_lo, s[2:3], v[2:3]
	s_and_saveexec_b32 s2, vcc_lo
	s_cbranch_execz .LBB12_2
; %bb.1:
	s_load_b256 s[20:27], s[0:1], 0x88
	v_lshlrev_b32_e32 v13, 5, v2
	s_clause 0x2
	s_load_b128 s[28:31], s[0:1], 0xa8
	s_load_b512 s[4:19], s[0:1], 0x40
	s_load_b64 s[2:3], s[0:1], 0x10
	s_waitcnt lgkmcnt(0)
	v_mul_hi_u32 v0, s20, v13
	s_delay_alu instid0(VALU_DEP_1) | instskip(NEXT) | instid1(VALU_DEP_1)
	v_add_nc_u32_e32 v0, v13, v0
	v_lshrrev_b32_e32 v12, s21, v0
	s_delay_alu instid0(VALU_DEP_1) | instskip(NEXT) | instid1(VALU_DEP_1)
	v_mul_hi_u32 v0, v12, s23
	v_add_nc_u32_e32 v0, v12, v0
	s_delay_alu instid0(VALU_DEP_1) | instskip(NEXT) | instid1(VALU_DEP_1)
	v_lshrrev_b32_e32 v0, s24, v0
	v_mul_hi_u32 v2, v0, s26
	s_delay_alu instid0(VALU_DEP_1) | instskip(NEXT) | instid1(VALU_DEP_1)
	v_add_nc_u32_e32 v2, v0, v2
	v_lshrrev_b32_e32 v39, s27, v2
	v_mul_lo_u32 v2, v0, s25
	s_load_b128 s[24:27], s[0:1], 0x0
	s_delay_alu instid0(VALU_DEP_2) | instskip(SKIP_1) | instid1(VALU_DEP_3)
	v_mul_lo_u32 v3, v39, s28
	v_mad_u64_u32 v[6:7], null, v39, s8, 0
	v_sub_nc_u32_e32 v23, v12, v2
	s_delay_alu instid0(VALU_DEP_3) | instskip(NEXT) | instid1(VALU_DEP_2)
	v_sub_nc_u32_e32 v9, v0, v3
	v_mad_u64_u32 v[2:3], null, v23, s4, 0
	v_mad_u64_u32 v[26:27], null, v23, s10, 0
	s_delay_alu instid0(VALU_DEP_3) | instskip(SKIP_2) | instid1(VALU_DEP_2)
	v_mad_u64_u32 v[4:5], null, v9, s6, 0
	v_mul_hi_u32 v18, v9, s29
	s_load_b32 s6, s[0:1], 0xc0
	v_dual_mov_b32 v0, v3 :: v_dual_mov_b32 v3, v5
	s_delay_alu instid0(VALU_DEP_1)
	v_mad_u64_u32 v[10:11], null, v23, s5, v[0:1]
	s_clause 0x1
	s_load_b64 s[4:5], s[0:1], 0xb8
	s_load_b64 s[0:1], s[0:1], 0x80
	s_waitcnt lgkmcnt(0)
	v_mul_hi_u32 v22, v39, s4
	s_add_u32 s4, 0, 0x38e27e00
	s_delay_alu instid0(VALU_DEP_1) | instskip(NEXT) | instid1(VALU_DEP_1)
	v_add_nc_u32_e32 v22, v39, v22
	v_lshrrev_b32_e32 v22, s5, v22
	s_addc_u32 s5, 0, 62
	s_delay_alu instid0(SALU_CYCLE_1) | instskip(NEXT) | instid1(VALU_DEP_1)
	s_add_i32 s5, s5, 0xe38e350
	v_mul_lo_u32 v22, v22, s6
	s_mul_i32 s6, s4, 0xffffffee
	s_delay_alu instid0(SALU_CYCLE_1) | instskip(NEXT) | instid1(VALU_DEP_1)
	s_mul_hi_u32 s8, s5, s6
	v_sub_nc_u32_e32 v37, v39, v22
	v_mov_b32_e32 v22, v27
	s_delay_alu instid0(VALU_DEP_2) | instskip(NEXT) | instid1(VALU_DEP_2)
	v_mad_u64_u32 v[32:33], null, v37, s14, 0
	v_mad_u64_u32 v[34:35], null, v23, s11, v[22:23]
	v_add_nc_u32_e32 v24, v9, v18
	v_mov_b32_e32 v0, v7
	v_mad_u64_u32 v[7:8], null, v9, s7, v[3:4]
	v_mov_b32_e32 v3, v10
	v_mul_lo_u32 v8, v12, s22
	v_mov_b32_e32 v27, v34
	v_lshrrev_b32_e32 v24, s30, v24
	s_mul_hi_u32 s7, s4, s6
	v_lshlrev_b64 v[2:3], 2, v[2:3]
	v_mov_b32_e32 v5, v7
	v_lshlrev_b64 v[26:27], 2, v[26:27]
	v_mul_lo_u32 v24, v24, s31
	s_delay_alu instid0(VALU_DEP_3) | instskip(NEXT) | instid1(VALU_DEP_2)
	v_lshlrev_b64 v[4:5], 2, v[4:5]
	v_sub_nc_u32_e32 v24, v9, v24
	s_delay_alu instid0(VALU_DEP_1) | instskip(NEXT) | instid1(VALU_DEP_1)
	v_mad_u64_u32 v[28:29], null, v24, s12, 0
	v_mov_b32_e32 v22, v29
	v_mov_b32_e32 v29, v33
	v_mad_u64_u32 v[11:12], null, v39, s9, v[0:1]
	v_sub_nc_u32_e32 v0, v13, v8
	v_add_co_u32 v8, vcc_lo, s24, v2
	v_add_co_ci_u32_e32 v10, vcc_lo, s25, v3, vcc_lo
	v_mad_u64_u32 v[35:36], null, v24, s13, v[22:23]
	v_mov_b32_e32 v7, v11
	s_mul_i32 s9, s5, 0xffffffee
	s_delay_alu instid0(VALU_DEP_1) | instskip(SKIP_3) | instid1(VALU_DEP_3)
	v_lshlrev_b64 v[2:3], 2, v[6:7]
	v_add_co_u32 v6, vcc_lo, v8, v4
	v_add_co_ci_u32_e32 v7, vcc_lo, v10, v5, vcc_lo
	v_lshlrev_b64 v[4:5], 2, v[0:1]
	v_add_co_u32 v1, vcc_lo, v6, v2
	s_delay_alu instid0(VALU_DEP_3) | instskip(SKIP_1) | instid1(VALU_DEP_3)
	v_add_co_ci_u32_e32 v2, vcc_lo, v7, v3, vcc_lo
	v_lshrrev_b32_e32 v0, 5, v0
	v_add_co_u32 v30, vcc_lo, v1, v4
	s_delay_alu instid0(VALU_DEP_3)
	v_add_co_ci_u32_e32 v31, vcc_lo, v2, v5, vcc_lo
	s_clause 0x5
	global_load_b128 v[10:13], v[30:31], off
	global_load_b128 v[14:17], v[30:31], off offset:16
	global_load_b128 v[5:8], v[30:31], off offset:32
	global_load_b128 v[1:4], v[30:31], off offset:48
	global_load_b128 v[18:21], v[30:31], off offset:64
	global_load_b128 v[22:25], v[30:31], off offset:80
	v_mad_u64_u32 v[33:34], null, v37, s15, v[29:30]
	v_mov_b32_e32 v29, v35
	v_add_co_u32 v34, vcc_lo, s26, v26
	v_add_co_ci_u32_e32 v35, vcc_lo, s27, v27, vcc_lo
	s_delay_alu instid0(VALU_DEP_3) | instskip(SKIP_1) | instid1(VALU_DEP_2)
	v_lshlrev_b64 v[28:29], 2, v[28:29]
	v_lshlrev_b64 v[26:27], 2, v[32:33]
	v_add_co_u32 v28, vcc_lo, v34, v28
	s_delay_alu instid0(VALU_DEP_3) | instskip(NEXT) | instid1(VALU_DEP_2)
	v_add_co_ci_u32_e32 v29, vcc_lo, v35, v29, vcc_lo
	v_add_co_u32 v26, vcc_lo, v28, v26
	s_delay_alu instid0(VALU_DEP_2)
	v_add_co_ci_u32_e32 v27, vcc_lo, v29, v27, vcc_lo
	global_load_b32 v36, v[26:27], off
	s_clause 0x1
	global_load_b128 v[26:29], v[30:31], off offset:96
	global_load_b128 v[30:33], v[30:31], off offset:112
	s_waitcnt vmcnt(8)
	v_cmp_lg_f32_e32 vcc_lo, 0, v10
	v_cndmask_b32_e64 v35, 0, |v10|, vcc_lo
	v_cndmask_b32_e32 v34, 0, v10, vcc_lo
	s_delay_alu instid0(VALU_DEP_2) | instskip(NEXT) | instid1(VALU_DEP_1)
	v_cmp_lt_f32_e64 vcc_lo, v35, |v11|
	v_cndmask_b32_e64 v35, v35, |v11|, vcc_lo
	s_delay_alu instid0(VALU_DEP_3) | instskip(NEXT) | instid1(VALU_DEP_2)
	v_cndmask_b32_e32 v34, v34, v11, vcc_lo
	v_cmp_lt_f32_e64 vcc_lo, v35, |v12|
	s_delay_alu instid0(VALU_DEP_1) | instskip(NEXT) | instid1(VALU_DEP_3)
	v_cndmask_b32_e64 v35, v35, |v12|, vcc_lo
	v_cndmask_b32_e32 v34, v34, v12, vcc_lo
	s_waitcnt vmcnt(2)
	v_ashrrev_i32_e32 v40, 31, v36
	s_delay_alu instid0(VALU_DEP_3) | instskip(SKIP_1) | instid1(VALU_DEP_2)
	v_cmp_lt_f32_e64 vcc_lo, v35, |v13|
	v_mul_lo_u32 v41, v36, s17
	v_cndmask_b32_e64 v35, v35, |v13|, vcc_lo
	v_cndmask_b32_e32 v34, v34, v13, vcc_lo
	s_delay_alu instid0(VALU_DEP_2) | instskip(NEXT) | instid1(VALU_DEP_1)
	v_cmp_lt_f32_e64 vcc_lo, v35, |v14|
	v_cndmask_b32_e64 v35, v35, |v14|, vcc_lo
	s_delay_alu instid0(VALU_DEP_3) | instskip(NEXT) | instid1(VALU_DEP_2)
	v_cndmask_b32_e32 v34, v34, v14, vcc_lo
	v_cmp_lt_f32_e64 vcc_lo, v35, |v15|
	s_delay_alu instid0(VALU_DEP_1) | instskip(NEXT) | instid1(VALU_DEP_3)
	v_cndmask_b32_e64 v35, v35, |v15|, vcc_lo
	v_cndmask_b32_e32 v34, v34, v15, vcc_lo
	s_delay_alu instid0(VALU_DEP_2) | instskip(NEXT) | instid1(VALU_DEP_1)
	v_cmp_lt_f32_e64 vcc_lo, v35, |v16|
	v_cndmask_b32_e64 v35, v35, |v16|, vcc_lo
	s_delay_alu instid0(VALU_DEP_3) | instskip(NEXT) | instid1(VALU_DEP_2)
	v_cndmask_b32_e32 v34, v34, v16, vcc_lo
	v_cmp_lt_f32_e64 vcc_lo, v35, |v17|
	s_delay_alu instid0(VALU_DEP_1) | instskip(NEXT) | instid1(VALU_DEP_3)
	;; [unrolled: 9-line block ×9, first 2 shown]
	v_cndmask_b32_e64 v35, v35, |v23|, vcc_lo
	v_cndmask_b32_e32 v34, v34, v23, vcc_lo
	s_delay_alu instid0(VALU_DEP_2) | instskip(NEXT) | instid1(VALU_DEP_1)
	v_cmp_lt_f32_e64 vcc_lo, v35, |v24|
	v_cndmask_b32_e64 v38, v35, |v24|, vcc_lo
	s_delay_alu instid0(VALU_DEP_3) | instskip(SKIP_2) | instid1(VALU_DEP_4)
	v_cndmask_b32_e32 v37, v34, v24, vcc_lo
	v_mad_u64_u32 v[34:35], null, v36, s16, 0
	v_mul_lo_u32 v36, v40, s16
	v_cmp_lt_f32_e64 vcc_lo, v38, |v25|
	s_delay_alu instid0(VALU_DEP_1) | instskip(SKIP_1) | instid1(VALU_DEP_4)
	v_cndmask_b32_e64 v38, v38, |v25|, vcc_lo
	v_cndmask_b32_e32 v37, v37, v25, vcc_lo
	v_add3_u32 v35, v35, v41, v36
	s_waitcnt vmcnt(1)
	s_delay_alu instid0(VALU_DEP_3) | instskip(NEXT) | instid1(VALU_DEP_1)
	v_cmp_lt_f32_e64 vcc_lo, v38, |v26|
	v_cndmask_b32_e64 v38, v38, |v26|, vcc_lo
	v_cndmask_b32_e32 v40, v37, v26, vcc_lo
	v_mad_u64_u32 v[36:37], null, v39, s0, v[34:35]
	s_mul_hi_u32 s0, s4, 0xffffffee
	s_delay_alu instid0(VALU_DEP_3) | instskip(SKIP_1) | instid1(SALU_CYCLE_1)
	v_cmp_lt_f32_e64 vcc_lo, v38, |v27|
	s_sub_i32 s0, s0, s4
	s_add_i32 s0, s0, s9
	v_cndmask_b32_e32 v35, v40, v27, vcc_lo
	s_delay_alu instid0(VALU_DEP_2) | instskip(NEXT) | instid1(VALU_DEP_4)
	v_cndmask_b32_e64 v40, v38, |v27|, vcc_lo
	v_mov_b32_e32 v34, v37
	s_mul_i32 s9, s4, s0
	s_mul_hi_u32 s10, s5, s0
	s_add_u32 s7, s7, s9
	v_cmp_lt_f32_e64 vcc_lo, v40, |v28|
	v_mad_u64_u32 v[37:38], null, v39, s1, v[34:35]
	s_mul_i32 s1, s5, s6
	s_mul_hi_u32 s6, s4, s0
	v_cndmask_b32_e32 v34, v35, v28, vcc_lo
	v_cndmask_b32_e64 v35, v40, |v28|, vcc_lo
	s_addc_u32 s6, 0, s6
	s_add_u32 s1, s7, s1
	s_mul_i32 s0, s5, s0
	s_addc_u32 s1, s6, s8
	v_cmp_lt_f32_e64 vcc_lo, v35, |v29|
	s_addc_u32 s6, s10, 0
	s_add_u32 s0, s1, s0
	s_addc_u32 s1, 0, s6
	v_add_co_u32 v41, s0, s4, s0
	v_cndmask_b32_e64 v39, v35, |v29|, vcc_lo
	v_cndmask_b32_e32 v38, v34, v29, vcc_lo
	v_mad_u64_u32 v[34:35], null, v9, s18, v[36:37]
	s_cmp_lg_u32 s0, 0
	s_waitcnt vmcnt(0)
	v_cmp_lt_f32_e64 vcc_lo, v39, |v30|
	s_addc_u32 s0, s5, s1
	s_delay_alu instid0(VALU_DEP_1) | instskip(SKIP_1) | instid1(VALU_DEP_4)
	v_cndmask_b32_e64 v39, v39, |v30|, vcc_lo
	v_cndmask_b32_e32 v38, v38, v30, vcc_lo
	v_mad_u64_u32 v[36:37], null, v9, s19, v[35:36]
	v_mul_hi_u32 v42, v34, v41
	s_delay_alu instid0(VALU_DEP_4) | instskip(NEXT) | instid1(VALU_DEP_1)
	v_cmp_lt_f32_e64 vcc_lo, v39, |v31|
	v_cndmask_b32_e64 v35, v39, |v31|, vcc_lo
	v_cndmask_b32_e32 v9, v38, v31, vcc_lo
	v_mad_u64_u32 v[37:38], null, v34, s0, 0
	v_mad_u64_u32 v[39:40], null, v36, v41, 0
	s_delay_alu instid0(VALU_DEP_4) | instskip(NEXT) | instid1(VALU_DEP_1)
	v_cmp_lt_f32_e64 vcc_lo, v35, |v32|
	v_cndmask_b32_e64 v35, v35, |v32|, vcc_lo
	v_cndmask_b32_e32 v9, v9, v32, vcc_lo
	v_add_co_u32 v41, vcc_lo, v42, v37
	v_add_co_ci_u32_e32 v42, vcc_lo, 0, v38, vcc_lo
	s_delay_alu instid0(VALU_DEP_4) | instskip(SKIP_4) | instid1(VALU_DEP_3)
	v_cmp_lt_f32_e64 vcc_lo, v35, |v33|
	v_mad_u64_u32 v[37:38], null, v36, s0, 0
	v_cndmask_b32_e32 v9, v9, v33, vcc_lo
	v_add_co_u32 v35, vcc_lo, v41, v39
	v_add_co_ci_u32_e32 v35, vcc_lo, v42, v40, vcc_lo
	v_mul_f32_e32 v40, 0xbe000000, v9
	v_add_co_ci_u32_e32 v38, vcc_lo, 0, v38, vcc_lo
	s_delay_alu instid0(VALU_DEP_3) | instskip(NEXT) | instid1(VALU_DEP_3)
	v_add_co_u32 v66, vcc_lo, v35, v37
	v_div_scale_f32 v41, null, v40, v40, 1.0
	s_delay_alu instid0(VALU_DEP_3) | instskip(NEXT) | instid1(VALU_DEP_3)
	v_add_co_ci_u32_e32 v42, vcc_lo, 0, v38, vcc_lo
	v_mad_u64_u32 v[37:38], null, v66, 18, 0
	s_delay_alu instid0(VALU_DEP_3) | instskip(NEXT) | instid1(VALU_DEP_1)
	v_rcp_f32_e32 v43, v41
	v_mov_b32_e32 v35, v38
	s_delay_alu instid0(VALU_DEP_2) | instskip(SKIP_4) | instid1(VALU_DEP_3)
	v_sub_co_u32 v34, s0, v34, v37
	s_waitcnt_depctr 0xfff
	v_fma_f32 v44, -v41, v43, 1.0
	v_mad_u64_u32 v[38:39], null, v42, 18, v[35:36]
	v_div_scale_f32 v35, vcc_lo, 1.0, v40, 1.0
	v_fmac_f32_e32 v43, v44, v43
	v_add_co_u32 v44, s1, v66, 2
	s_delay_alu instid0(VALU_DEP_1) | instskip(NEXT) | instid1(VALU_DEP_3)
	v_add_co_ci_u32_e64 v45, s1, 0, v42, s1
	v_mul_f32_e32 v37, v35, v43
	v_sub_co_ci_u32_e64 v36, s0, v36, v38, s0
	v_sub_co_u32 v38, s0, v34, 18
	s_delay_alu instid0(VALU_DEP_3) | instskip(NEXT) | instid1(VALU_DEP_3)
	v_fma_f32 v39, -v41, v37, v35
	v_subrev_co_ci_u32_e64 v46, s0, 0, v36, s0
	s_delay_alu instid0(VALU_DEP_3) | instskip(NEXT) | instid1(VALU_DEP_3)
	v_cmp_lt_u32_e64 s0, 17, v38
	v_fmac_f32_e32 v37, v39, v43
	s_delay_alu instid0(VALU_DEP_2) | instskip(SKIP_1) | instid1(VALU_DEP_3)
	v_cndmask_b32_e64 v38, 0, -1, s0
	v_cmp_lt_u32_e64 s0, 17, v34
	v_fma_f32 v35, -v41, v37, v35
	s_delay_alu instid0(VALU_DEP_2) | instskip(NEXT) | instid1(VALU_DEP_2)
	v_cndmask_b32_e64 v34, 0, -1, s0
	v_div_fmas_f32 v35, v35, v43, v37
	v_add_co_u32 v37, vcc_lo, v66, 1
	v_add_co_ci_u32_e32 v39, vcc_lo, 0, v42, vcc_lo
	v_cmp_eq_u32_e64 s0, 0, v46
	v_cmp_eq_u32_e32 vcc_lo, 0, v36
	v_div_fixup_f32 v35, v35, v40, 1.0
	s_delay_alu instid0(VALU_DEP_3) | instskip(SKIP_2) | instid1(VALU_DEP_3)
	v_cndmask_b32_e64 v38, -1, v38, s0
	v_cndmask_b32_e32 v34, -1, v34, vcc_lo
	v_cmp_neq_f32_e32 vcc_lo, 0, v40
	v_cmp_ne_u32_e64 s0, 0, v38
	v_cndmask_b32_e32 v35, 0, v35, vcc_lo
	s_delay_alu instid0(VALU_DEP_2) | instskip(SKIP_1) | instid1(VALU_DEP_3)
	v_cndmask_b32_e64 v36, v39, v45, s0
	v_cndmask_b32_e64 v67, v37, v44, s0
	v_fmaak_f32 v1, v1, v35, 0x41080000
	v_cmp_ne_u32_e32 vcc_lo, 0, v34
	v_fmaak_f32 v10, v10, v35, 0x41080000
	v_fmaak_f32 v18, v18, v35, 0x41080000
	;; [unrolled: 1-line block ×16, first 2 shown]
	v_dual_cndmask_b32 v70, v42, v36 :: v_dual_fmaak_f32 v31, v31, v35, 0x41080000
	v_fmaak_f32 v19, v19, v35, 0x41080000
	v_fmaak_f32 v21, v21, v35, 0x41080000
	;; [unrolled: 1-line block ×14, first 2 shown]
	v_cvt_i32_f32_e32 v50, v10
	v_cvt_i32_f32_e32 v10, v18
	;; [unrolled: 1-line block ×32, first 2 shown]
	v_cvt_f64_i32_e32 v[1:2], v10
	v_cvt_f64_i32_e32 v[3:4], v11
	;; [unrolled: 1-line block ×32, first 2 shown]
	v_cndmask_b32_e32 v68, v66, v67, vcc_lo
	s_mov_b32 s0, 0xbe000000
	s_delay_alu instid0(SALU_CYCLE_1) | instskip(NEXT) | instid1(VALU_DEP_2)
	v_fma_mixlo_f16 v9, v9, s0, 0
	v_mad_u64_u32 v[66:67], null, v68, 18, s[2:3]
	v_min_f64 v[1:2], 0x402e0000, v[1:2]
	v_min_f64 v[3:4], 0x402e0000, v[3:4]
	;; [unrolled: 1-line block ×32, first 2 shown]
	v_mad_u64_u32 v[68:69], null, v70, 18, v[67:68]
	v_cvt_i32_f64_e32 v1, v[1:2]
	v_cvt_i32_f64_e32 v2, v[3:4]
	;; [unrolled: 1-line block ×32, first 2 shown]
	v_mov_b32_e32 v67, v68
	s_delay_alu instid0(VALU_DEP_1)
	v_mad_u64_u32 v[4:5], null, v0, 18, v[66:67]
	v_lshlrev_b16 v0, 4, v1
	v_lshlrev_b16 v1, 4, v2
	;; [unrolled: 1-line block ×24, first 2 shown]
	v_or_b32_e32 v0, v0, v28
	v_or_b32_e32 v1, v1, v29
	;; [unrolled: 1-line block ×16, first 2 shown]
	v_and_b32_e32 v8, 0xff, v8
	v_and_b32_e32 v10, 0xff, v10
	v_and_b32_e32 v6, 0xff, v6
	v_and_b32_e32 v7, 0xff, v7
	v_and_b32_e32 v2, 0xff, v2
	v_and_b32_e32 v3, 0xff, v3
	v_and_b32_e32 v0, 0xff, v0
	v_and_b32_e32 v1, 0xff, v1
	v_or_b32_e32 v8, v8, v11
	v_or_b32_e32 v10, v10, v12
	;; [unrolled: 1-line block ×6, first 2 shown]
	v_lshlrev_b32_e32 v10, 16, v10
	v_or_b32_e32 v0, v0, v17
	v_or_b32_e32 v1, v1, v18
	v_and_b32_e32 v8, 0xffff, v8
	v_and_b32_e32 v6, 0xffff, v6
	v_lshlrev_b32_e32 v7, 16, v7
	v_and_b32_e32 v11, 0xffff, v2
	v_lshlrev_b32_e32 v12, 16, v3
	;; [unrolled: 2-line block ×3, first 2 shown]
	v_or_b32_e32 v3, v8, v10
	v_or_b32_e32 v2, v6, v7
	v_or_b32_e32 v1, v11, v12
	s_delay_alu instid0(VALU_DEP_4)
	v_or_b32_e32 v0, v0, v13
	s_clause 0x1
	global_store_b16 v[4:5], v9, off
	global_store_b128 v[4:5], v[0:3], off offset:2
.LBB12_2:
	s_nop 0
	s_sendmsg sendmsg(MSG_DEALLOC_VGPRS)
	s_endpgm
	.section	.rodata,"a",@progbits
	.p2align	6, 0x0
	.amdhsa_kernel _ZL16k_set_rows_quantIi10block_q4_0Li32ETnPFvPKfPT0_EXadL_ZL23quantize_f32_q4_0_blockS2_PS0_EEEvS2_PKT_S4_llllllllllllll15HIP_vector_typeIjLj3EESC_SC_SC_SC_
		.amdhsa_group_segment_fixed_size 0
		.amdhsa_private_segment_fixed_size 0
		.amdhsa_kernarg_size 456
		.amdhsa_user_sgpr_count 15
		.amdhsa_user_sgpr_dispatch_ptr 0
		.amdhsa_user_sgpr_queue_ptr 0
		.amdhsa_user_sgpr_kernarg_segment_ptr 1
		.amdhsa_user_sgpr_dispatch_id 0
		.amdhsa_user_sgpr_private_segment_size 0
		.amdhsa_wavefront_size32 1
		.amdhsa_uses_dynamic_stack 0
		.amdhsa_enable_private_segment 0
		.amdhsa_system_sgpr_workgroup_id_x 1
		.amdhsa_system_sgpr_workgroup_id_y 0
		.amdhsa_system_sgpr_workgroup_id_z 0
		.amdhsa_system_sgpr_workgroup_info 0
		.amdhsa_system_vgpr_workitem_id 0
		.amdhsa_next_free_vgpr 71
		.amdhsa_next_free_sgpr 32
		.amdhsa_reserve_vcc 1
		.amdhsa_float_round_mode_32 0
		.amdhsa_float_round_mode_16_64 0
		.amdhsa_float_denorm_mode_32 3
		.amdhsa_float_denorm_mode_16_64 3
		.amdhsa_dx10_clamp 1
		.amdhsa_ieee_mode 1
		.amdhsa_fp16_overflow 0
		.amdhsa_workgroup_processor_mode 1
		.amdhsa_memory_ordered 1
		.amdhsa_forward_progress 0
		.amdhsa_shared_vgpr_count 0
		.amdhsa_exception_fp_ieee_invalid_op 0
		.amdhsa_exception_fp_denorm_src 0
		.amdhsa_exception_fp_ieee_div_zero 0
		.amdhsa_exception_fp_ieee_overflow 0
		.amdhsa_exception_fp_ieee_underflow 0
		.amdhsa_exception_fp_ieee_inexact 0
		.amdhsa_exception_int_div_zero 0
	.end_amdhsa_kernel
	.section	.text._ZL16k_set_rows_quantIi10block_q4_0Li32ETnPFvPKfPT0_EXadL_ZL23quantize_f32_q4_0_blockS2_PS0_EEEvS2_PKT_S4_llllllllllllll15HIP_vector_typeIjLj3EESC_SC_SC_SC_,"axG",@progbits,_ZL16k_set_rows_quantIi10block_q4_0Li32ETnPFvPKfPT0_EXadL_ZL23quantize_f32_q4_0_blockS2_PS0_EEEvS2_PKT_S4_llllllllllllll15HIP_vector_typeIjLj3EESC_SC_SC_SC_,comdat
.Lfunc_end12:
	.size	_ZL16k_set_rows_quantIi10block_q4_0Li32ETnPFvPKfPT0_EXadL_ZL23quantize_f32_q4_0_blockS2_PS0_EEEvS2_PKT_S4_llllllllllllll15HIP_vector_typeIjLj3EESC_SC_SC_SC_, .Lfunc_end12-_ZL16k_set_rows_quantIi10block_q4_0Li32ETnPFvPKfPT0_EXadL_ZL23quantize_f32_q4_0_blockS2_PS0_EEEvS2_PKT_S4_llllllllllllll15HIP_vector_typeIjLj3EESC_SC_SC_SC_
                                        ; -- End function
	.section	.AMDGPU.csdata,"",@progbits
; Kernel info:
; codeLenInByte = 3644
; NumSgprs: 34
; NumVgprs: 71
; ScratchSize: 0
; MemoryBound: 0
; FloatMode: 240
; IeeeMode: 1
; LDSByteSize: 0 bytes/workgroup (compile time only)
; SGPRBlocks: 4
; VGPRBlocks: 8
; NumSGPRsForWavesPerEU: 34
; NumVGPRsForWavesPerEU: 71
; Occupancy: 16
; WaveLimiterHint : 1
; COMPUTE_PGM_RSRC2:SCRATCH_EN: 0
; COMPUTE_PGM_RSRC2:USER_SGPR: 15
; COMPUTE_PGM_RSRC2:TRAP_HANDLER: 0
; COMPUTE_PGM_RSRC2:TGID_X_EN: 1
; COMPUTE_PGM_RSRC2:TGID_Y_EN: 0
; COMPUTE_PGM_RSRC2:TGID_Z_EN: 0
; COMPUTE_PGM_RSRC2:TIDIG_COMP_CNT: 0
	.section	.text._ZL16k_set_rows_quantIi10block_q4_1Li32ETnPFvPKfPT0_EXadL_ZL23quantize_f32_q4_1_blockS2_PS0_EEEvS2_PKT_S4_llllllllllllll15HIP_vector_typeIjLj3EESC_SC_SC_SC_,"axG",@progbits,_ZL16k_set_rows_quantIi10block_q4_1Li32ETnPFvPKfPT0_EXadL_ZL23quantize_f32_q4_1_blockS2_PS0_EEEvS2_PKT_S4_llllllllllllll15HIP_vector_typeIjLj3EESC_SC_SC_SC_,comdat
	.globl	_ZL16k_set_rows_quantIi10block_q4_1Li32ETnPFvPKfPT0_EXadL_ZL23quantize_f32_q4_1_blockS2_PS0_EEEvS2_PKT_S4_llllllllllllll15HIP_vector_typeIjLj3EESC_SC_SC_SC_ ; -- Begin function _ZL16k_set_rows_quantIi10block_q4_1Li32ETnPFvPKfPT0_EXadL_ZL23quantize_f32_q4_1_blockS2_PS0_EEEvS2_PKT_S4_llllllllllllll15HIP_vector_typeIjLj3EESC_SC_SC_SC_
	.p2align	8
	.type	_ZL16k_set_rows_quantIi10block_q4_1Li32ETnPFvPKfPT0_EXadL_ZL23quantize_f32_q4_1_blockS2_PS0_EEEvS2_PKT_S4_llllllllllllll15HIP_vector_typeIjLj3EESC_SC_SC_SC_,@function
_ZL16k_set_rows_quantIi10block_q4_1Li32ETnPFvPKfPT0_EXadL_ZL23quantize_f32_q4_1_blockS2_PS0_EEEvS2_PKT_S4_llllllllllllll15HIP_vector_typeIjLj3EESC_SC_SC_SC_: ; @_ZL16k_set_rows_quantIi10block_q4_1Li32ETnPFvPKfPT0_EXadL_ZL23quantize_f32_q4_1_blockS2_PS0_EEEvS2_PKT_S4_llllllllllllll15HIP_vector_typeIjLj3EESC_SC_SC_SC_
; %bb.0:
	s_clause 0x1
	s_load_b32 s4, s[0:1], 0xd4
	s_load_b64 s[2:3], s[0:1], 0x18
	v_mov_b32_e32 v1, 0
	s_waitcnt lgkmcnt(0)
	s_and_b32 s4, s4, 0xffff
	s_delay_alu instid0(VALU_DEP_1) | instid1(SALU_CYCLE_1)
	v_mad_u64_u32 v[2:3], null, s4, s15, v[0:1]
	s_delay_alu instid0(VALU_DEP_1)
	v_cmp_gt_i64_e32 vcc_lo, s[2:3], v[2:3]
	s_and_saveexec_b32 s2, vcc_lo
	s_cbranch_execz .LBB13_2
; %bb.1:
	s_load_b256 s[20:27], s[0:1], 0x88
	v_lshlrev_b32_e32 v12, 5, v2
	s_clause 0x2
	s_load_b128 s[28:31], s[0:1], 0xa8
	s_load_b512 s[4:19], s[0:1], 0x40
	s_load_b64 s[2:3], s[0:1], 0x10
	s_waitcnt lgkmcnt(0)
	v_mul_hi_u32 v0, s20, v12
	s_delay_alu instid0(VALU_DEP_1) | instskip(NEXT) | instid1(VALU_DEP_1)
	v_add_nc_u32_e32 v0, v12, v0
	v_lshrrev_b32_e32 v11, s21, v0
	s_delay_alu instid0(VALU_DEP_1) | instskip(NEXT) | instid1(VALU_DEP_1)
	v_mul_hi_u32 v0, v11, s23
	v_add_nc_u32_e32 v0, v11, v0
	s_delay_alu instid0(VALU_DEP_1) | instskip(NEXT) | instid1(VALU_DEP_1)
	v_lshrrev_b32_e32 v0, s24, v0
	v_mul_hi_u32 v2, v0, s26
	s_delay_alu instid0(VALU_DEP_1) | instskip(NEXT) | instid1(VALU_DEP_1)
	v_add_nc_u32_e32 v2, v0, v2
	v_lshrrev_b32_e32 v26, s27, v2
	v_mul_lo_u32 v2, v0, s25
	s_load_b128 s[24:27], s[0:1], 0x0
	s_delay_alu instid0(VALU_DEP_2) | instskip(SKIP_1) | instid1(VALU_DEP_3)
	v_mul_lo_u32 v3, v26, s28
	v_mad_u64_u32 v[6:7], null, v26, s8, 0
	v_sub_nc_u32_e32 v19, v11, v2
	s_delay_alu instid0(VALU_DEP_3) | instskip(NEXT) | instid1(VALU_DEP_2)
	v_sub_nc_u32_e32 v25, v0, v3
	v_mad_u64_u32 v[2:3], null, v19, s4, 0
	s_delay_alu instid0(VALU_DEP_2) | instskip(SKIP_1) | instid1(VALU_DEP_1)
	v_mad_u64_u32 v[4:5], null, v25, s6, 0
	s_load_b32 s6, s[0:1], 0xc0
	v_dual_mov_b32 v0, v3 :: v_dual_mov_b32 v3, v5
	s_delay_alu instid0(VALU_DEP_1) | instskip(SKIP_2) | instid1(VALU_DEP_4)
	v_mad_u64_u32 v[8:9], null, v19, s5, v[0:1]
	v_mov_b32_e32 v0, v7
	v_mul_lo_u32 v7, v11, s22
	v_mad_u64_u32 v[9:10], null, v25, s7, v[3:4]
	s_load_b64 s[4:5], s[0:1], 0xb8
	s_delay_alu instid0(VALU_DEP_3) | instskip(SKIP_2) | instid1(VALU_DEP_4)
	v_mad_u64_u32 v[10:11], null, v26, s9, v[0:1]
	v_mov_b32_e32 v3, v8
	s_load_b64 s[0:1], s[0:1], 0x80
	v_sub_nc_u32_e32 v0, v12, v7
	s_delay_alu instid0(VALU_DEP_4) | instskip(NEXT) | instid1(VALU_DEP_3)
	v_mov_b32_e32 v5, v9
	v_lshlrev_b64 v[2:3], 2, v[2:3]
	v_mov_b32_e32 v7, v10
	s_delay_alu instid0(VALU_DEP_3) | instskip(SKIP_1) | instid1(VALU_DEP_3)
	v_lshlrev_b64 v[4:5], 2, v[4:5]
	s_waitcnt lgkmcnt(0)
	v_add_co_u32 v8, vcc_lo, s24, v2
	s_delay_alu instid0(VALU_DEP_4) | instskip(SKIP_1) | instid1(VALU_DEP_3)
	v_add_co_ci_u32_e32 v9, vcc_lo, s25, v3, vcc_lo
	v_lshlrev_b64 v[2:3], 2, v[6:7]
	v_add_co_u32 v6, vcc_lo, v8, v4
	s_delay_alu instid0(VALU_DEP_3) | instskip(SKIP_1) | instid1(VALU_DEP_3)
	v_add_co_ci_u32_e32 v7, vcc_lo, v9, v5, vcc_lo
	v_lshlrev_b64 v[4:5], 2, v[0:1]
	v_add_co_u32 v1, vcc_lo, v6, v2
	s_delay_alu instid0(VALU_DEP_3) | instskip(SKIP_1) | instid1(VALU_DEP_3)
	v_add_co_ci_u32_e32 v2, vcc_lo, v7, v3, vcc_lo
	v_lshrrev_b32_e32 v0, 5, v0
	v_add_co_u32 v9, vcc_lo, v1, v4
	s_delay_alu instid0(VALU_DEP_3)
	v_add_co_ci_u32_e32 v10, vcc_lo, v2, v5, vcc_lo
	v_mul_hi_u32 v1, v25, s29
	v_mul_hi_u32 v2, v26, s4
	s_add_u32 s4, 0, 0xcccc3000
	s_clause 0x2
	global_load_b128 v[5:8], v[9:10], off offset:32
	global_load_b128 v[21:24], v[9:10], off
	global_load_b128 v[13:16], v[9:10], off offset:16
	s_mul_hi_u32 s7, s4, 0xffffffec
	v_add_nc_u32_e32 v1, v25, v1
	v_add_nc_u32_e32 v2, v26, v2
	s_delay_alu instid0(VALU_DEP_2) | instskip(NEXT) | instid1(VALU_DEP_2)
	v_lshrrev_b32_e32 v1, s30, v1
	v_lshrrev_b32_e32 v2, s5, v2
	s_addc_u32 s5, 0, 44
	s_sub_i32 s7, s7, s4
	s_add_i32 s5, s5, 0xccccca0
	v_mul_lo_u32 v3, v1, s31
	v_mul_lo_u32 v4, v2, s6
	v_mad_u64_u32 v[1:2], null, v19, s10, 0
	s_mul_i32 s9, s5, 0xffffffec
	s_mul_i32 s6, s4, 0xffffffec
	s_add_i32 s7, s7, s9
	s_mul_hi_u32 s8, s4, s6
	s_delay_alu instid0(VALU_DEP_3) | instskip(NEXT) | instid1(VALU_DEP_3)
	v_sub_nc_u32_e32 v20, v25, v3
	v_sub_nc_u32_e32 v27, v26, v4
	s_delay_alu instid0(VALU_DEP_3) | instskip(SKIP_1) | instid1(VALU_DEP_3)
	v_mad_u64_u32 v[3:4], null, v19, s11, v[2:3]
	s_mul_i32 s11, s4, s7
	v_mad_u64_u32 v[11:12], null, v20, s12, 0
	s_delay_alu instid0(VALU_DEP_3) | instskip(SKIP_4) | instid1(VALU_DEP_2)
	v_mad_u64_u32 v[17:18], null, v27, s14, 0
	s_mul_hi_u32 s9, s4, s7
	s_mul_hi_u32 s10, s5, s6
	s_mul_i32 s6, s5, s6
	s_add_u32 s8, s8, s11
	v_mov_b32_e32 v2, v12
	s_addc_u32 s9, 0, s9
	s_delay_alu instid0(VALU_DEP_2) | instskip(SKIP_4) | instid1(VALU_DEP_2)
	v_mov_b32_e32 v4, v18
	s_mul_hi_u32 s12, s5, s7
	s_mul_i32 s7, s5, s7
	v_mad_u64_u32 v[18:19], null, v20, s13, v[2:3]
	v_mov_b32_e32 v2, v3
	v_mov_b32_e32 v12, v18
	s_delay_alu instid0(VALU_DEP_1)
	v_lshlrev_b64 v[11:12], 2, v[11:12]
	s_waitcnt vmcnt(2)
	v_mad_u64_u32 v[19:20], null, v27, s15, v[4:5]
	v_lshlrev_b64 v[27:28], 2, v[1:2]
	global_load_b128 v[1:4], v[9:10], off offset:48
	v_mov_b32_e32 v18, v19
	v_add_co_u32 v19, vcc_lo, s26, v27
	v_add_co_ci_u32_e32 v20, vcc_lo, s27, v28, vcc_lo
	s_delay_alu instid0(VALU_DEP_3) | instskip(NEXT) | instid1(VALU_DEP_3)
	v_lshlrev_b64 v[17:18], 2, v[17:18]
	v_add_co_u32 v11, vcc_lo, v19, v11
	s_delay_alu instid0(VALU_DEP_3) | instskip(SKIP_2) | instid1(VALU_DEP_3)
	v_add_co_ci_u32_e32 v12, vcc_lo, v20, v12, vcc_lo
	s_waitcnt vmcnt(2)
	v_max_f32_e32 v27, v21, v21
	v_add_co_u32 v11, vcc_lo, v11, v17
	s_delay_alu instid0(VALU_DEP_3) | instskip(NEXT) | instid1(VALU_DEP_3)
	v_add_co_ci_u32_e32 v12, vcc_lo, v12, v18, vcc_lo
	v_min_f32_e32 v28, 0x7f7fffff, v27
	global_load_b32 v37, v[11:12], off
	s_clause 0x3
	global_load_b128 v[29:32], v[9:10], off offset:64
	global_load_b128 v[33:36], v[9:10], off offset:80
	;; [unrolled: 1-line block ×4, first 2 shown]
	v_max_f32_e32 v27, 0xff7fffff, v27
	v_cmp_lt_f32_e32 vcc_lo, v22, v28
	v_cndmask_b32_e32 v28, v28, v22, vcc_lo
	s_delay_alu instid0(VALU_DEP_3) | instskip(SKIP_1) | instid1(VALU_DEP_3)
	v_cmp_gt_f32_e32 vcc_lo, v22, v27
	v_cndmask_b32_e32 v27, v27, v22, vcc_lo
	v_cmp_lt_f32_e32 vcc_lo, v23, v28
	v_cndmask_b32_e32 v28, v28, v23, vcc_lo
	s_delay_alu instid0(VALU_DEP_3) | instskip(SKIP_1) | instid1(VALU_DEP_3)
	v_cmp_gt_f32_e32 vcc_lo, v23, v27
	v_cndmask_b32_e32 v27, v27, v23, vcc_lo
	v_cmp_lt_f32_e32 vcc_lo, v24, v28
	v_cndmask_b32_e32 v28, v28, v24, vcc_lo
	s_delay_alu instid0(VALU_DEP_3) | instskip(SKIP_2) | instid1(VALU_DEP_3)
	v_cmp_gt_f32_e32 vcc_lo, v24, v27
	v_cndmask_b32_e32 v27, v27, v24, vcc_lo
	s_waitcnt vmcnt(6)
	v_cmp_lt_f32_e32 vcc_lo, v13, v28
	v_cndmask_b32_e32 v28, v28, v13, vcc_lo
	s_delay_alu instid0(VALU_DEP_3) | instskip(SKIP_1) | instid1(VALU_DEP_3)
	v_cmp_gt_f32_e32 vcc_lo, v13, v27
	v_cndmask_b32_e32 v27, v27, v13, vcc_lo
	v_cmp_lt_f32_e32 vcc_lo, v14, v28
	v_cndmask_b32_e32 v28, v28, v14, vcc_lo
	s_delay_alu instid0(VALU_DEP_3) | instskip(SKIP_1) | instid1(VALU_DEP_3)
	v_cmp_gt_f32_e32 vcc_lo, v14, v27
	v_cndmask_b32_e32 v27, v27, v14, vcc_lo
	;; [unrolled: 5-line block ×7, first 2 shown]
	v_cmp_lt_f32_e32 vcc_lo, v8, v28
	v_cndmask_b32_e32 v28, v28, v8, vcc_lo
	s_delay_alu instid0(VALU_DEP_3) | instskip(SKIP_2) | instid1(VALU_DEP_3)
	v_cmp_gt_f32_e32 vcc_lo, v8, v27
	v_cndmask_b32_e32 v27, v27, v8, vcc_lo
	s_waitcnt vmcnt(5)
	v_cmp_lt_f32_e32 vcc_lo, v1, v28
	v_cndmask_b32_e32 v28, v28, v1, vcc_lo
	s_delay_alu instid0(VALU_DEP_3) | instskip(SKIP_1) | instid1(VALU_DEP_3)
	v_cmp_gt_f32_e32 vcc_lo, v1, v27
	v_cndmask_b32_e32 v27, v27, v1, vcc_lo
	v_cmp_lt_f32_e32 vcc_lo, v2, v28
	v_cndmask_b32_e32 v28, v28, v2, vcc_lo
	s_delay_alu instid0(VALU_DEP_3)
	v_cmp_gt_f32_e32 vcc_lo, v2, v27
	s_waitcnt vmcnt(4)
	v_ashrrev_i32_e32 v38, 31, v37
	v_mul_lo_u32 v39, v37, s17
	v_cndmask_b32_e32 v27, v27, v2, vcc_lo
	v_cmp_lt_f32_e32 vcc_lo, v3, v28
	v_cndmask_b32_e32 v28, v28, v3, vcc_lo
	s_delay_alu instid0(VALU_DEP_3) | instskip(SKIP_1) | instid1(VALU_DEP_3)
	v_cmp_gt_f32_e32 vcc_lo, v3, v27
	v_cndmask_b32_e32 v27, v27, v3, vcc_lo
	v_cmp_lt_f32_e32 vcc_lo, v4, v28
	v_cndmask_b32_e32 v40, v28, v4, vcc_lo
	s_delay_alu instid0(VALU_DEP_3) | instskip(SKIP_2) | instid1(VALU_DEP_3)
	v_cmp_gt_f32_e32 vcc_lo, v4, v27
	v_cndmask_b32_e32 v41, v27, v4, vcc_lo
	s_waitcnt vmcnt(3)
	v_cmp_lt_f32_e32 vcc_lo, v29, v40
	v_mad_u64_u32 v[27:28], null, v37, s16, 0
	v_mul_lo_u32 v37, v38, s16
	v_cndmask_b32_e32 v38, v40, v29, vcc_lo
	v_cmp_gt_f32_e32 vcc_lo, v29, v41
	v_cndmask_b32_e32 v40, v41, v29, vcc_lo
	s_delay_alu instid0(VALU_DEP_3) | instskip(SKIP_2) | instid1(VALU_DEP_4)
	v_cmp_lt_f32_e32 vcc_lo, v30, v38
	v_add3_u32 v28, v28, v39, v37
	v_cndmask_b32_e32 v38, v38, v30, vcc_lo
	v_cmp_gt_f32_e32 vcc_lo, v30, v40
	v_cndmask_b32_e32 v40, v40, v30, vcc_lo
	s_delay_alu instid0(VALU_DEP_3) | instskip(SKIP_1) | instid1(VALU_DEP_3)
	v_cmp_lt_f32_e32 vcc_lo, v31, v38
	v_cndmask_b32_e32 v39, v38, v31, vcc_lo
	v_cmp_gt_f32_e32 vcc_lo, v31, v40
	v_mad_u64_u32 v[37:38], null, v26, s0, v[27:28]
	s_add_u32 s0, s8, s6
	s_addc_u32 s0, s9, s10
	v_cndmask_b32_e32 v40, v40, v31, vcc_lo
	v_cmp_lt_f32_e32 vcc_lo, v32, v39
	s_addc_u32 s6, s12, 0
	s_add_u32 s0, s0, s7
	v_cndmask_b32_e32 v27, v39, v32, vcc_lo
	v_cmp_gt_f32_e32 vcc_lo, v32, v40
	v_cndmask_b32_e32 v28, v40, v32, vcc_lo
	s_waitcnt vmcnt(2)
	s_delay_alu instid0(VALU_DEP_3) | instskip(SKIP_1) | instid1(VALU_DEP_3)
	v_cmp_lt_f32_e32 vcc_lo, v33, v27
	v_cndmask_b32_e32 v39, v27, v33, vcc_lo
	v_cmp_gt_f32_e32 vcc_lo, v33, v28
	v_dual_mov_b32 v27, v38 :: v_dual_cndmask_b32 v28, v28, v33
	s_delay_alu instid0(VALU_DEP_3) | instskip(SKIP_1) | instid1(VALU_DEP_3)
	v_cmp_lt_f32_e32 vcc_lo, v34, v39
	v_cndmask_b32_e32 v40, v39, v34, vcc_lo
	v_cmp_gt_f32_e32 vcc_lo, v34, v28
	v_cndmask_b32_e32 v28, v28, v34, vcc_lo
	s_delay_alu instid0(VALU_DEP_3) | instskip(NEXT) | instid1(VALU_DEP_2)
	v_cmp_lt_f32_e32 vcc_lo, v35, v40
	v_mad_u64_u32 v[38:39], null, v26, s1, v[27:28]
	v_cndmask_b32_e32 v26, v40, v35, vcc_lo
	v_cmp_gt_f32_e32 vcc_lo, v35, v28
	s_addc_u32 s1, 0, s6
	v_cndmask_b32_e32 v27, v28, v35, vcc_lo
	s_delay_alu instid0(VALU_DEP_3) | instskip(SKIP_1) | instid1(VALU_DEP_1)
	v_cmp_lt_f32_e32 vcc_lo, v36, v26
	v_add_co_u32 v28, s0, s4, s0
	s_cmp_lg_u32 s0, 0
	v_cndmask_b32_e32 v39, v26, v36, vcc_lo
	v_cmp_gt_f32_e32 vcc_lo, v36, v27
	s_addc_u32 s0, s5, s1
	v_cndmask_b32_e32 v40, v27, v36, vcc_lo
	s_waitcnt vmcnt(1)
	v_cmp_lt_f32_e32 vcc_lo, v17, v39
	v_mad_u64_u32 v[26:27], null, v25, s18, v[37:38]
	v_cndmask_b32_e32 v37, v39, v17, vcc_lo
	v_cmp_gt_f32_e32 vcc_lo, v17, v40
	s_delay_alu instid0(VALU_DEP_3) | instskip(SKIP_1) | instid1(VALU_DEP_4)
	v_mul_hi_u32 v41, v26, v28
	v_cndmask_b32_e32 v38, v40, v17, vcc_lo
	v_cmp_lt_f32_e32 vcc_lo, v18, v37
	v_cndmask_b32_e32 v37, v37, v18, vcc_lo
	s_delay_alu instid0(VALU_DEP_3) | instskip(SKIP_1) | instid1(VALU_DEP_3)
	v_cmp_gt_f32_e32 vcc_lo, v18, v38
	v_cndmask_b32_e32 v38, v38, v18, vcc_lo
	v_cmp_lt_f32_e32 vcc_lo, v19, v37
	v_cndmask_b32_e32 v39, v37, v19, vcc_lo
	s_delay_alu instid0(VALU_DEP_3) | instskip(SKIP_1) | instid1(VALU_DEP_3)
	v_cmp_gt_f32_e32 vcc_lo, v19, v38
	v_cndmask_b32_e32 v40, v38, v19, vcc_lo
	v_cmp_lt_f32_e32 vcc_lo, v20, v39
	v_mad_u64_u32 v[37:38], null, v26, s0, 0
	v_cndmask_b32_e32 v42, v39, v20, vcc_lo
	s_delay_alu instid0(VALU_DEP_4) | instskip(SKIP_2) | instid1(VALU_DEP_3)
	v_cmp_gt_f32_e32 vcc_lo, v20, v40
	v_cndmask_b32_e32 v43, v40, v20, vcc_lo
	s_waitcnt vmcnt(0)
	v_cmp_lt_f32_e32 vcc_lo, v9, v42
	v_mad_u64_u32 v[39:40], null, v25, s19, v[27:28]
	v_cndmask_b32_e32 v25, v42, v9, vcc_lo
	v_cmp_gt_f32_e32 vcc_lo, v9, v43
	v_cndmask_b32_e32 v27, v43, v9, vcc_lo
	v_add_co_u32 v42, vcc_lo, v41, v37
	v_add_co_ci_u32_e32 v43, vcc_lo, 0, v38, vcc_lo
	v_cmp_lt_f32_e32 vcc_lo, v10, v25
	v_mad_u64_u32 v[37:38], null, v39, v28, 0
	v_mad_u64_u32 v[40:41], null, v39, s0, 0
	v_cndmask_b32_e32 v25, v25, v10, vcc_lo
	v_cmp_gt_f32_e32 vcc_lo, v10, v27
	v_cndmask_b32_e32 v27, v27, v10, vcc_lo
	s_delay_alu instid0(VALU_DEP_3) | instskip(SKIP_1) | instid1(VALU_DEP_3)
	v_cmp_lt_f32_e32 vcc_lo, v11, v25
	v_cndmask_b32_e32 v25, v25, v11, vcc_lo
	v_cmp_gt_f32_e32 vcc_lo, v11, v27
	v_cndmask_b32_e32 v28, v27, v11, vcc_lo
	s_delay_alu instid0(VALU_DEP_3) | instskip(SKIP_1) | instid1(VALU_DEP_3)
	v_cmp_lt_f32_e32 vcc_lo, v12, v25
	v_cndmask_b32_e32 v27, v25, v12, vcc_lo
	v_cmp_gt_f32_e32 vcc_lo, v12, v28
	s_delay_alu instid0(VALU_DEP_2) | instskip(SKIP_3) | instid1(VALU_DEP_3)
	v_sub_f32_e32 v21, v21, v27
	v_cndmask_b32_e32 v25, v28, v12, vcc_lo
	v_add_co_u32 v28, vcc_lo, v42, v37
	v_add_co_ci_u32_e32 v28, vcc_lo, v43, v38, vcc_lo
	v_sub_f32_e32 v42, v25, v27
	v_add_co_ci_u32_e32 v25, vcc_lo, 0, v41, vcc_lo
	s_delay_alu instid0(VALU_DEP_3) | instskip(NEXT) | instid1(VALU_DEP_3)
	v_add_co_u32 v43, vcc_lo, v28, v40
	v_div_scale_f32 v28, null, 0x41700000, 0x41700000, v42
	s_delay_alu instid0(VALU_DEP_3) | instskip(NEXT) | instid1(VALU_DEP_3)
	v_add_co_ci_u32_e32 v44, vcc_lo, 0, v25, vcc_lo
	v_mad_u64_u32 v[37:38], null, v43, 20, 0
	s_delay_alu instid0(VALU_DEP_3)
	v_rcp_f32_e32 v45, v28
	v_sub_f32_e32 v29, v29, v27
	v_sub_f32_e32 v31, v31, v27
	;; [unrolled: 1-line block ×5, first 2 shown]
	v_mov_b32_e32 v25, v38
	v_sub_f32_e32 v15, v15, v27
	v_sub_f32_e32 v22, v22, v27
	;; [unrolled: 1-line block ×3, first 2 shown]
	v_fma_f32 v38, -v28, v45, 1.0
	v_mad_u64_u32 v[40:41], null, v44, 20, v[25:26]
	v_div_scale_f32 v25, vcc_lo, v42, 0x41700000, v42
	s_delay_alu instid0(VALU_DEP_3) | instskip(SKIP_2) | instid1(VALU_DEP_3)
	v_fmac_f32_e32 v45, v38, v45
	v_sub_co_u32 v26, s0, v26, v37
	v_add_co_u32 v41, s1, v43, 2
	v_mul_f32_e32 v37, v25, v45
	v_sub_co_ci_u32_e64 v38, s0, v39, v40, s0
	s_delay_alu instid0(VALU_DEP_4) | instskip(NEXT) | instid1(VALU_DEP_3)
	v_sub_co_u32 v39, s0, v26, 20
	v_fma_f32 v40, -v28, v37, v25
	s_delay_alu instid0(VALU_DEP_3) | instskip(NEXT) | instid1(VALU_DEP_3)
	v_subrev_co_ci_u32_e64 v47, s0, 0, v38, s0
	v_cmp_lt_u32_e64 s0, 19, v39
	v_add_co_ci_u32_e64 v46, s1, 0, v44, s1
	s_delay_alu instid0(VALU_DEP_4) | instskip(SKIP_1) | instid1(VALU_DEP_4)
	v_fmac_f32_e32 v37, v40, v45
	v_sub_f32_e32 v16, v16, v27
	v_cndmask_b32_e64 v39, 0, -1, s0
	v_cmp_lt_u32_e64 s0, 19, v26
	v_sub_f32_e32 v17, v17, v27
	v_fma_f32 v25, -v28, v37, v25
	v_sub_f32_e32 v19, v19, v27
	v_sub_f32_e32 v20, v20, v27
	v_cndmask_b32_e64 v26, 0, -1, s0
	v_cmp_eq_u32_e64 s0, 0, v47
	v_div_fmas_f32 v25, v25, v45, v37
	v_add_co_u32 v37, vcc_lo, v43, 1
	v_add_co_ci_u32_e32 v40, vcc_lo, 0, v44, vcc_lo
	s_delay_alu instid0(VALU_DEP_4) | instskip(NEXT) | instid1(VALU_DEP_4)
	v_cndmask_b32_e64 v39, -1, v39, s0
	v_div_fixup_f32 v28, v25, 0x41700000, v42
	v_cmp_eq_u32_e64 s0, 0, v38
	v_sub_f32_e32 v9, v9, v27
	v_sub_f32_e32 v11, v11, v27
	v_cmp_ne_u32_e32 vcc_lo, 0, v39
	v_div_scale_f32 v38, null, v28, v28, 1.0
	v_cndmask_b32_e64 v25, -1, v26, s0
	v_sub_f32_e32 v24, v24, v27
	v_dual_cndmask_b32 v26, v40, v46 :: v_dual_cndmask_b32 v37, v37, v41
	s_delay_alu instid0(VALU_DEP_4) | instskip(NEXT) | instid1(VALU_DEP_3)
	v_rcp_f32_e32 v39, v38
	v_cmp_ne_u32_e32 vcc_lo, 0, v25
	v_sub_f32_e32 v32, v32, v27
	v_sub_f32_e32 v34, v34, v27
	v_sub_f32_e32 v36, v36, v27
	v_sub_f32_e32 v5, v5, v27
	v_cndmask_b32_e32 v37, v43, v37, vcc_lo
	v_cndmask_b32_e32 v71, v44, v26, vcc_lo
	v_div_scale_f32 v40, vcc_lo, 1.0, v28, 1.0
	v_sub_f32_e32 v6, v6, v27
	s_delay_alu instid0(VALU_DEP_4)
	v_mad_u64_u32 v[25:26], null, v37, 20, s[2:3]
	v_fma_f32 v37, -v38, v39, 1.0
	v_sub_f32_e32 v18, v18, v27
	v_sub_f32_e32 v7, v7, v27
	;; [unrolled: 1-line block ×4, first 2 shown]
	v_fmac_f32_e32 v39, v37, v39
	v_mad_u64_u32 v[69:70], null, v71, 20, v[26:27]
	v_sub_f32_e32 v23, v23, v27
	v_sub_f32_e32 v2, v2, v27
	s_delay_alu instid0(VALU_DEP_4)
	v_mul_f32_e32 v37, v40, v39
	v_sub_f32_e32 v10, v10, v27
	v_sub_f32_e32 v3, v3, v27
	;; [unrolled: 1-line block ×4, first 2 shown]
	v_fma_f32 v41, -v38, v37, v40
	v_mov_b32_e32 v26, v69
	s_delay_alu instid0(VALU_DEP_2) | instskip(NEXT) | instid1(VALU_DEP_1)
	v_fmac_f32_e32 v37, v41, v39
	v_fma_f32 v38, -v38, v37, v40
	s_delay_alu instid0(VALU_DEP_1) | instskip(SKIP_1) | instid1(VALU_DEP_2)
	v_div_fmas_f32 v37, v38, v39, v37
	v_cmp_neq_f32_e32 vcc_lo, 0, v28
	v_div_fixup_f32 v37, v37, v28, 1.0
	v_sub_f32_e32 v30, v30, v27
	v_cvt_f16_f32_e32 v27, v27
	s_delay_alu instid0(VALU_DEP_3) | instskip(NEXT) | instid1(VALU_DEP_1)
	v_cndmask_b32_e32 v37, 0, v37, vcc_lo
	v_fma_f32 v21, v21, v37, 0.5
	v_fma_f32 v29, v29, v37, 0.5
	;; [unrolled: 1-line block ×32, first 2 shown]
	v_cvt_i32_f32_e32 v53, v21
	v_cvt_i32_f32_e32 v21, v29
	;; [unrolled: 1-line block ×32, first 2 shown]
	v_cvt_f64_i32_e32 v[1:2], v21
	v_cvt_f64_i32_e32 v[3:4], v22
	;; [unrolled: 1-line block ×32, first 2 shown]
	v_min_f64 v[1:2], 0x402e0000, v[1:2]
	v_min_f64 v[3:4], 0x402e0000, v[3:4]
	v_min_f64 v[5:6], 0x402e0000, v[5:6]
	v_min_f64 v[7:8], 0x402e0000, v[7:8]
	v_min_f64 v[9:10], 0x402e0000, v[9:10]
	v_min_f64 v[11:12], 0x402e0000, v[11:12]
	v_min_f64 v[13:14], 0x402e0000, v[13:14]
	v_min_f64 v[15:16], 0x402e0000, v[15:16]
	v_min_f64 v[17:18], 0x402e0000, v[17:18]
	v_min_f64 v[19:20], 0x402e0000, v[19:20]
	v_min_f64 v[21:22], 0x402e0000, v[21:22]
	v_min_f64 v[23:24], 0x402e0000, v[23:24]
	v_min_f64 v[29:30], 0x402e0000, v[29:30]
	v_min_f64 v[31:32], 0x402e0000, v[31:32]
	v_min_f64 v[33:34], 0x402e0000, v[33:34]
	v_min_f64 v[35:36], 0x402e0000, v[35:36]
	v_min_f64 v[37:38], 0x402e0000, v[37:38]
	v_min_f64 v[39:40], 0x402e0000, v[39:40]
	v_min_f64 v[41:42], 0x402e0000, v[41:42]
	v_min_f64 v[43:44], 0x402e0000, v[43:44]
	v_min_f64 v[45:46], 0x402e0000, v[45:46]
	v_min_f64 v[47:48], 0x402e0000, v[47:48]
	v_min_f64 v[49:50], 0x402e0000, v[49:50]
	v_min_f64 v[51:52], 0x402e0000, v[51:52]
	v_min_f64 v[53:54], 0x402e0000, v[53:54]
	v_min_f64 v[55:56], 0x402e0000, v[55:56]
	v_min_f64 v[57:58], 0x402e0000, v[57:58]
	v_min_f64 v[59:60], 0x402e0000, v[59:60]
	v_min_f64 v[61:62], 0x402e0000, v[61:62]
	v_min_f64 v[63:64], 0x402e0000, v[63:64]
	v_min_f64 v[65:66], 0x402e0000, v[65:66]
	v_min_f64 v[67:68], 0x402e0000, v[67:68]
	v_cvt_i32_f64_e32 v1, v[1:2]
	v_cvt_i32_f64_e32 v2, v[3:4]
	;; [unrolled: 1-line block ×32, first 2 shown]
	v_mad_u64_u32 v[4:5], null, v0, 20, v[25:26]
	v_cvt_f16_f32_e32 v0, v28
	v_lshlrev_b16 v1, 4, v1
	v_lshlrev_b16 v2, 4, v2
	;; [unrolled: 1-line block ×24, first 2 shown]
	v_or_b32_e32 v1, v1, v31
	v_or_b32_e32 v2, v2, v32
	;; [unrolled: 1-line block ×16, first 2 shown]
	v_and_b32_e32 v9, 0xff, v9
	v_and_b32_e32 v10, 0xff, v10
	;; [unrolled: 1-line block ×8, first 2 shown]
	v_or_b32_e32 v9, v9, v11
	v_or_b32_e32 v10, v10, v12
	;; [unrolled: 1-line block ×8, first 2 shown]
	v_and_b32_e32 v9, 0xffff, v9
	v_lshlrev_b32_e32 v10, 16, v10
	v_and_b32_e32 v7, 0xffff, v7
	v_lshlrev_b32_e32 v8, 16, v8
	;; [unrolled: 2-line block ×4, first 2 shown]
	v_pack_b32_f16 v14, v0, v27
	v_or_b32_e32 v3, v9, v10
	v_or_b32_e32 v2, v7, v8
	;; [unrolled: 1-line block ×4, first 2 shown]
	s_clause 0x1
	global_store_b32 v[4:5], v14, off
	global_store_b128 v[4:5], v[0:3], off offset:4
.LBB13_2:
	s_nop 0
	s_sendmsg sendmsg(MSG_DEALLOC_VGPRS)
	s_endpgm
	.section	.rodata,"a",@progbits
	.p2align	6, 0x0
	.amdhsa_kernel _ZL16k_set_rows_quantIi10block_q4_1Li32ETnPFvPKfPT0_EXadL_ZL23quantize_f32_q4_1_blockS2_PS0_EEEvS2_PKT_S4_llllllllllllll15HIP_vector_typeIjLj3EESC_SC_SC_SC_
		.amdhsa_group_segment_fixed_size 0
		.amdhsa_private_segment_fixed_size 0
		.amdhsa_kernarg_size 456
		.amdhsa_user_sgpr_count 15
		.amdhsa_user_sgpr_dispatch_ptr 0
		.amdhsa_user_sgpr_queue_ptr 0
		.amdhsa_user_sgpr_kernarg_segment_ptr 1
		.amdhsa_user_sgpr_dispatch_id 0
		.amdhsa_user_sgpr_private_segment_size 0
		.amdhsa_wavefront_size32 1
		.amdhsa_uses_dynamic_stack 0
		.amdhsa_enable_private_segment 0
		.amdhsa_system_sgpr_workgroup_id_x 1
		.amdhsa_system_sgpr_workgroup_id_y 0
		.amdhsa_system_sgpr_workgroup_id_z 0
		.amdhsa_system_sgpr_workgroup_info 0
		.amdhsa_system_vgpr_workitem_id 0
		.amdhsa_next_free_vgpr 72
		.amdhsa_next_free_sgpr 32
		.amdhsa_reserve_vcc 1
		.amdhsa_float_round_mode_32 0
		.amdhsa_float_round_mode_16_64 0
		.amdhsa_float_denorm_mode_32 3
		.amdhsa_float_denorm_mode_16_64 3
		.amdhsa_dx10_clamp 1
		.amdhsa_ieee_mode 1
		.amdhsa_fp16_overflow 0
		.amdhsa_workgroup_processor_mode 1
		.amdhsa_memory_ordered 1
		.amdhsa_forward_progress 0
		.amdhsa_shared_vgpr_count 0
		.amdhsa_exception_fp_ieee_invalid_op 0
		.amdhsa_exception_fp_denorm_src 0
		.amdhsa_exception_fp_ieee_div_zero 0
		.amdhsa_exception_fp_ieee_overflow 0
		.amdhsa_exception_fp_ieee_underflow 0
		.amdhsa_exception_fp_ieee_inexact 0
		.amdhsa_exception_int_div_zero 0
	.end_amdhsa_kernel
	.section	.text._ZL16k_set_rows_quantIi10block_q4_1Li32ETnPFvPKfPT0_EXadL_ZL23quantize_f32_q4_1_blockS2_PS0_EEEvS2_PKT_S4_llllllllllllll15HIP_vector_typeIjLj3EESC_SC_SC_SC_,"axG",@progbits,_ZL16k_set_rows_quantIi10block_q4_1Li32ETnPFvPKfPT0_EXadL_ZL23quantize_f32_q4_1_blockS2_PS0_EEEvS2_PKT_S4_llllllllllllll15HIP_vector_typeIjLj3EESC_SC_SC_SC_,comdat
.Lfunc_end13:
	.size	_ZL16k_set_rows_quantIi10block_q4_1Li32ETnPFvPKfPT0_EXadL_ZL23quantize_f32_q4_1_blockS2_PS0_EEEvS2_PKT_S4_llllllllllllll15HIP_vector_typeIjLj3EESC_SC_SC_SC_, .Lfunc_end13-_ZL16k_set_rows_quantIi10block_q4_1Li32ETnPFvPKfPT0_EXadL_ZL23quantize_f32_q4_1_blockS2_PS0_EEEvS2_PKT_S4_llllllllllllll15HIP_vector_typeIjLj3EESC_SC_SC_SC_
                                        ; -- End function
	.section	.AMDGPU.csdata,"",@progbits
; Kernel info:
; codeLenInByte = 3712
; NumSgprs: 34
; NumVgprs: 72
; ScratchSize: 0
; MemoryBound: 0
; FloatMode: 240
; IeeeMode: 1
; LDSByteSize: 0 bytes/workgroup (compile time only)
; SGPRBlocks: 4
; VGPRBlocks: 8
; NumSGPRsForWavesPerEU: 34
; NumVGPRsForWavesPerEU: 72
; Occupancy: 16
; WaveLimiterHint : 1
; COMPUTE_PGM_RSRC2:SCRATCH_EN: 0
; COMPUTE_PGM_RSRC2:USER_SGPR: 15
; COMPUTE_PGM_RSRC2:TRAP_HANDLER: 0
; COMPUTE_PGM_RSRC2:TGID_X_EN: 1
; COMPUTE_PGM_RSRC2:TGID_Y_EN: 0
; COMPUTE_PGM_RSRC2:TGID_Z_EN: 0
; COMPUTE_PGM_RSRC2:TIDIG_COMP_CNT: 0
	.section	.text._ZL16k_set_rows_quantIi10block_q5_0Li32ETnPFvPKfPT0_EXadL_ZL23quantize_f32_q5_0_blockS2_PS0_EEEvS2_PKT_S4_llllllllllllll15HIP_vector_typeIjLj3EESC_SC_SC_SC_,"axG",@progbits,_ZL16k_set_rows_quantIi10block_q5_0Li32ETnPFvPKfPT0_EXadL_ZL23quantize_f32_q5_0_blockS2_PS0_EEEvS2_PKT_S4_llllllllllllll15HIP_vector_typeIjLj3EESC_SC_SC_SC_,comdat
	.globl	_ZL16k_set_rows_quantIi10block_q5_0Li32ETnPFvPKfPT0_EXadL_ZL23quantize_f32_q5_0_blockS2_PS0_EEEvS2_PKT_S4_llllllllllllll15HIP_vector_typeIjLj3EESC_SC_SC_SC_ ; -- Begin function _ZL16k_set_rows_quantIi10block_q5_0Li32ETnPFvPKfPT0_EXadL_ZL23quantize_f32_q5_0_blockS2_PS0_EEEvS2_PKT_S4_llllllllllllll15HIP_vector_typeIjLj3EESC_SC_SC_SC_
	.p2align	8
	.type	_ZL16k_set_rows_quantIi10block_q5_0Li32ETnPFvPKfPT0_EXadL_ZL23quantize_f32_q5_0_blockS2_PS0_EEEvS2_PKT_S4_llllllllllllll15HIP_vector_typeIjLj3EESC_SC_SC_SC_,@function
_ZL16k_set_rows_quantIi10block_q5_0Li32ETnPFvPKfPT0_EXadL_ZL23quantize_f32_q5_0_blockS2_PS0_EEEvS2_PKT_S4_llllllllllllll15HIP_vector_typeIjLj3EESC_SC_SC_SC_: ; @_ZL16k_set_rows_quantIi10block_q5_0Li32ETnPFvPKfPT0_EXadL_ZL23quantize_f32_q5_0_blockS2_PS0_EEEvS2_PKT_S4_llllllllllllll15HIP_vector_typeIjLj3EESC_SC_SC_SC_
; %bb.0:
	s_clause 0x1
	s_load_b32 s4, s[0:1], 0xd4
	s_load_b64 s[2:3], s[0:1], 0x18
	v_mov_b32_e32 v1, 0
	s_waitcnt lgkmcnt(0)
	s_and_b32 s4, s4, 0xffff
	s_delay_alu instid0(VALU_DEP_1) | instid1(SALU_CYCLE_1)
	v_mad_u64_u32 v[2:3], null, s4, s15, v[0:1]
	s_delay_alu instid0(VALU_DEP_1)
	v_cmp_gt_i64_e32 vcc_lo, s[2:3], v[2:3]
	s_and_saveexec_b32 s2, vcc_lo
	s_cbranch_execz .LBB14_4
; %bb.1:
	s_load_b256 s[20:27], s[0:1], 0x88
	v_lshlrev_b32_e32 v14, 5, v2
	s_clause 0x2
	s_load_b128 s[28:31], s[0:1], 0xa8
	s_load_b512 s[4:19], s[0:1], 0x40
	s_load_b64 s[2:3], s[0:1], 0x10
	s_waitcnt lgkmcnt(0)
	v_mul_hi_u32 v0, s20, v14
	s_delay_alu instid0(VALU_DEP_1) | instskip(NEXT) | instid1(VALU_DEP_1)
	v_add_nc_u32_e32 v0, v14, v0
	v_lshrrev_b32_e32 v13, s21, v0
	s_delay_alu instid0(VALU_DEP_1) | instskip(NEXT) | instid1(VALU_DEP_1)
	v_mul_hi_u32 v0, v13, s23
	v_add_nc_u32_e32 v0, v13, v0
	s_delay_alu instid0(VALU_DEP_1) | instskip(NEXT) | instid1(VALU_DEP_1)
	v_lshrrev_b32_e32 v0, s24, v0
	v_mul_hi_u32 v2, v0, s26
	s_delay_alu instid0(VALU_DEP_1) | instskip(NEXT) | instid1(VALU_DEP_1)
	v_add_nc_u32_e32 v2, v0, v2
	v_lshrrev_b32_e32 v45, s27, v2
	v_mul_lo_u32 v2, v0, s25
	s_load_b128 s[24:27], s[0:1], 0x0
	s_delay_alu instid0(VALU_DEP_2) | instskip(SKIP_1) | instid1(VALU_DEP_3)
	v_mul_lo_u32 v3, v45, s28
	v_mad_u64_u32 v[8:9], null, v45, s8, 0
	v_sub_nc_u32_e32 v30, v13, v2
	s_delay_alu instid0(VALU_DEP_3) | instskip(NEXT) | instid1(VALU_DEP_2)
	v_sub_nc_u32_e32 v10, v0, v3
	v_mad_u64_u32 v[2:3], null, v30, s4, 0
	v_mad_u64_u32 v[31:32], null, v30, s10, 0
	s_delay_alu instid0(VALU_DEP_3) | instskip(SKIP_2) | instid1(VALU_DEP_4)
	v_mad_u64_u32 v[6:7], null, v10, s6, 0
	v_mul_hi_u32 v27, v10, s29
	s_load_b32 s6, s[0:1], 0xc0
	v_mov_b32_e32 v0, v3
	s_delay_alu instid0(VALU_DEP_3) | instskip(NEXT) | instid1(VALU_DEP_2)
	v_mov_b32_e32 v3, v7
	v_mad_u64_u32 v[4:5], null, v30, s5, v[0:1]
	s_delay_alu instid0(VALU_DEP_4) | instskip(SKIP_4) | instid1(VALU_DEP_3)
	v_dual_mov_b32 v0, v9 :: v_dual_add_nc_u32 v27, v10, v27
	v_mul_lo_u32 v9, v13, s22
	s_clause 0x1
	s_load_b64 s[4:5], s[0:1], 0xb8
	s_load_b64 s[0:1], s[0:1], 0x80
	v_mad_u64_u32 v[11:12], null, v10, s7, v[3:4]
	v_mov_b32_e32 v3, v4
	v_mad_u64_u32 v[12:13], null, v45, s9, v[0:1]
	s_delay_alu instid0(VALU_DEP_4) | instskip(SKIP_1) | instid1(VALU_DEP_4)
	v_sub_nc_u32_e32 v0, v14, v9
	v_lshrrev_b32_e32 v27, s30, v27
	v_lshlrev_b64 v[4:5], 2, v[2:3]
	v_mov_b32_e32 v7, v11
	s_delay_alu instid0(VALU_DEP_4) | instskip(SKIP_2) | instid1(VALU_DEP_4)
	v_lshlrev_b64 v[43:44], 2, v[0:1]
	v_mov_b32_e32 v9, v12
	v_mul_lo_u32 v27, v27, s31
	v_lshlrev_b64 v[6:7], 2, v[6:7]
	s_waitcnt lgkmcnt(0)
	v_add_co_u32 v2, vcc_lo, s24, v4
	v_add_co_ci_u32_e32 v3, vcc_lo, s25, v5, vcc_lo
	v_lshlrev_b64 v[8:9], 2, v[8:9]
	s_delay_alu instid0(VALU_DEP_3) | instskip(NEXT) | instid1(VALU_DEP_3)
	v_add_co_u32 v2, vcc_lo, v2, v6
	v_add_co_ci_u32_e32 v3, vcc_lo, v3, v7, vcc_lo
	v_mul_hi_u32 v28, v45, s4
	s_delay_alu instid0(VALU_DEP_3) | instskip(NEXT) | instid1(VALU_DEP_3)
	v_add_co_u32 v2, vcc_lo, v2, v8
	v_add_co_ci_u32_e32 v3, vcc_lo, v3, v9, vcc_lo
	v_sub_nc_u32_e32 v38, v10, v27
	s_delay_alu instid0(VALU_DEP_3) | instskip(NEXT) | instid1(VALU_DEP_3)
	v_add_co_u32 v2, vcc_lo, v2, v43
	v_add_co_ci_u32_e32 v3, vcc_lo, v3, v44, vcc_lo
	v_dual_mov_b32 v27, v32 :: v_dual_add_nc_u32 v28, v45, v28
	s_clause 0x3
	global_load_b128 v[11:14], v[2:3], off
	global_load_b128 v[15:18], v[2:3], off offset:16
	global_load_b128 v[19:22], v[2:3], off offset:32
	;; [unrolled: 1-line block ×3, first 2 shown]
	v_lshrrev_b32_e32 v28, s5, v28
	v_mad_u64_u32 v[33:34], null, v38, s12, 0
	s_add_u32 s4, 0, 0x2e8b0a00
	s_addc_u32 s5, 0, 42
	s_delay_alu instid0(VALU_DEP_2)
	v_mul_lo_u32 v28, v28, s6
	s_add_i32 s5, s5, 0xba2e890
	s_mul_i32 s6, s4, 0xffffffea
	s_mul_i32 s9, s5, 0xffffffea
	s_mul_hi_u32 s7, s4, s6
	s_mul_hi_u32 s8, s5, s6
	v_lshrrev_b32_e32 v0, 5, v0
	s_delay_alu instid0(VALU_DEP_2) | instskip(SKIP_2) | instid1(VALU_DEP_4)
	v_sub_nc_u32_e32 v39, v45, v28
	v_mad_u64_u32 v[28:29], null, v30, s11, v[27:28]
	v_mov_b32_e32 v27, v34
	v_mul_lo_u32 v0, v0, 22
	s_delay_alu instid0(VALU_DEP_4) | instskip(NEXT) | instid1(VALU_DEP_4)
	v_mad_u64_u32 v[35:36], null, v39, s14, 0
	v_mov_b32_e32 v32, v28
	s_delay_alu instid0(VALU_DEP_2) | instskip(SKIP_1) | instid1(VALU_DEP_3)
	v_mov_b32_e32 v29, v36
	v_mad_u64_u32 v[36:37], null, v38, s13, v[27:28]
	v_lshlrev_b64 v[31:32], 2, v[31:32]
	s_delay_alu instid0(VALU_DEP_3) | instskip(SKIP_3) | instid1(VALU_DEP_2)
	v_mad_u64_u32 v[37:38], null, v39, s15, v[29:30]
	global_load_b128 v[27:30], v[2:3], off offset:64
	v_mov_b32_e32 v34, v36
	v_mov_b32_e32 v36, v37
	v_lshlrev_b64 v[33:34], 2, v[33:34]
	v_add_co_u32 v37, vcc_lo, s26, v31
	v_add_co_ci_u32_e32 v38, vcc_lo, s27, v32, vcc_lo
	s_delay_alu instid0(VALU_DEP_4) | instskip(NEXT) | instid1(VALU_DEP_3)
	v_lshlrev_b64 v[31:32], 2, v[35:36]
	v_add_co_u32 v33, vcc_lo, v37, v33
	s_delay_alu instid0(VALU_DEP_3) | instskip(NEXT) | instid1(VALU_DEP_2)
	v_add_co_ci_u32_e32 v34, vcc_lo, v38, v34, vcc_lo
	v_add_co_u32 v31, vcc_lo, v33, v31
	s_delay_alu instid0(VALU_DEP_2)
	v_add_co_ci_u32_e32 v32, vcc_lo, v34, v32, vcc_lo
	global_load_b32 v46, v[31:32], off
	s_clause 0x2
	global_load_b128 v[31:34], v[2:3], off offset:80
	global_load_b128 v[35:38], v[2:3], off offset:96
	;; [unrolled: 1-line block ×3, first 2 shown]
	s_waitcnt vmcnt(8)
	v_cmp_lg_f32_e32 vcc_lo, 0, v11
	v_cndmask_b32_e32 v47, 0, v11, vcc_lo
	v_cndmask_b32_e64 v11, 0, |v11|, vcc_lo
	s_delay_alu instid0(VALU_DEP_1) | instskip(NEXT) | instid1(VALU_DEP_3)
	v_cmp_lt_f32_e64 vcc_lo, v11, |v12|
	v_cndmask_b32_e32 v47, v47, v12, vcc_lo
	s_delay_alu instid0(VALU_DEP_2) | instskip(NEXT) | instid1(VALU_DEP_1)
	v_cndmask_b32_e64 v11, v11, |v12|, vcc_lo
	v_cmp_lt_f32_e64 vcc_lo, v11, |v13|
	s_delay_alu instid0(VALU_DEP_1) | instskip(NEXT) | instid1(VALU_DEP_4)
	v_cndmask_b32_e64 v11, v11, |v13|, vcc_lo
	v_cndmask_b32_e32 v12, v47, v13, vcc_lo
	s_delay_alu instid0(VALU_DEP_2) | instskip(NEXT) | instid1(VALU_DEP_1)
	v_cmp_lt_f32_e64 vcc_lo, v11, |v14|
	v_cndmask_b32_e64 v11, v11, |v14|, vcc_lo
	s_delay_alu instid0(VALU_DEP_3) | instskip(SKIP_1) | instid1(VALU_DEP_2)
	v_cndmask_b32_e32 v12, v12, v14, vcc_lo
	s_waitcnt vmcnt(7)
	v_cmp_lt_f32_e64 vcc_lo, v11, |v15|
	s_delay_alu instid0(VALU_DEP_1) | instskip(NEXT) | instid1(VALU_DEP_3)
	v_cndmask_b32_e64 v11, v11, |v15|, vcc_lo
	v_cndmask_b32_e32 v12, v12, v15, vcc_lo
	s_delay_alu instid0(VALU_DEP_2) | instskip(NEXT) | instid1(VALU_DEP_1)
	v_cmp_lt_f32_e64 vcc_lo, v11, |v16|
	v_cndmask_b32_e64 v11, v11, |v16|, vcc_lo
	s_delay_alu instid0(VALU_DEP_3) | instskip(SKIP_4) | instid1(VALU_DEP_3)
	v_cndmask_b32_e32 v12, v12, v16, vcc_lo
	s_waitcnt vmcnt(3)
	v_ashrrev_i32_e32 v15, 31, v46
	v_mul_lo_u32 v16, v46, s17
	v_cmp_lt_f32_e64 vcc_lo, v11, |v17|
	v_mul_lo_u32 v15, v15, s16
	s_delay_alu instid0(VALU_DEP_2) | instskip(SKIP_1) | instid1(VALU_DEP_2)
	v_cndmask_b32_e64 v11, v11, |v17|, vcc_lo
	v_cndmask_b32_e32 v12, v12, v17, vcc_lo
	v_cmp_lt_f32_e64 vcc_lo, v11, |v18|
	s_delay_alu instid0(VALU_DEP_1) | instskip(NEXT) | instid1(VALU_DEP_3)
	v_cndmask_b32_e64 v11, v11, |v18|, vcc_lo
	v_cndmask_b32_e32 v12, v12, v18, vcc_lo
	s_delay_alu instid0(VALU_DEP_2) | instskip(NEXT) | instid1(VALU_DEP_1)
	v_cmp_lt_f32_e64 vcc_lo, v11, |v19|
	v_cndmask_b32_e64 v11, v11, |v19|, vcc_lo
	s_delay_alu instid0(VALU_DEP_3) | instskip(NEXT) | instid1(VALU_DEP_2)
	v_cndmask_b32_e32 v12, v12, v19, vcc_lo
	v_cmp_lt_f32_e64 vcc_lo, v11, |v20|
	s_delay_alu instid0(VALU_DEP_1) | instskip(NEXT) | instid1(VALU_DEP_3)
	v_cndmask_b32_e64 v11, v11, |v20|, vcc_lo
	v_cndmask_b32_e32 v12, v12, v20, vcc_lo
	s_delay_alu instid0(VALU_DEP_2) | instskip(NEXT) | instid1(VALU_DEP_1)
	v_cmp_lt_f32_e64 vcc_lo, v11, |v21|
	v_cndmask_b32_e64 v11, v11, |v21|, vcc_lo
	s_delay_alu instid0(VALU_DEP_3) | instskip(NEXT) | instid1(VALU_DEP_2)
	;; [unrolled: 9-line block ×5, first 2 shown]
	v_cndmask_b32_e32 v12, v12, v27, vcc_lo
	v_cmp_lt_f32_e64 vcc_lo, v11, |v28|
	s_delay_alu instid0(VALU_DEP_1) | instskip(NEXT) | instid1(VALU_DEP_3)
	v_cndmask_b32_e64 v11, v11, |v28|, vcc_lo
	v_cndmask_b32_e32 v12, v12, v28, vcc_lo
	s_delay_alu instid0(VALU_DEP_2) | instskip(NEXT) | instid1(VALU_DEP_1)
	v_cmp_lt_f32_e64 vcc_lo, v11, |v29|
	v_cndmask_b32_e64 v14, v11, |v29|, vcc_lo
	s_delay_alu instid0(VALU_DEP_3) | instskip(SKIP_1) | instid1(VALU_DEP_3)
	v_cndmask_b32_e32 v13, v12, v29, vcc_lo
	v_mad_u64_u32 v[11:12], null, v46, s16, 0
	v_cmp_lt_f32_e64 vcc_lo, v14, |v30|
	s_delay_alu instid0(VALU_DEP_2) | instskip(NEXT) | instid1(VALU_DEP_2)
	v_add3_u32 v12, v12, v16, v15
	v_cndmask_b32_e64 v14, v14, |v30|, vcc_lo
	v_cndmask_b32_e32 v13, v13, v30, vcc_lo
	s_waitcnt vmcnt(2)
	s_delay_alu instid0(VALU_DEP_2) | instskip(NEXT) | instid1(VALU_DEP_1)
	v_cmp_lt_f32_e64 vcc_lo, v14, |v31|
	v_cndmask_b32_e64 v16, v14, |v31|, vcc_lo
	s_delay_alu instid0(VALU_DEP_3) | instskip(SKIP_2) | instid1(VALU_DEP_3)
	v_cndmask_b32_e32 v15, v13, v31, vcc_lo
	v_mad_u64_u32 v[13:14], null, v45, s0, v[11:12]
	s_mul_hi_u32 s0, s4, 0xffffffea
	v_cmp_lt_f32_e64 vcc_lo, v16, |v32|
	s_sub_i32 s0, s0, s4
	s_delay_alu instid0(SALU_CYCLE_1) | instskip(SKIP_1) | instid1(VALU_DEP_2)
	s_add_i32 s0, s0, s9
	v_cndmask_b32_e32 v12, v15, v32, vcc_lo
	v_cndmask_b32_e64 v16, v16, |v32|, vcc_lo
	s_delay_alu instid0(VALU_DEP_4)
	v_mov_b32_e32 v11, v14
	s_mul_i32 s9, s4, s0
	s_mul_hi_u32 s10, s5, s0
	s_add_u32 s7, s7, s9
	v_cmp_lt_f32_e64 vcc_lo, v16, |v33|
	v_mad_u64_u32 v[14:15], null, v45, s1, v[11:12]
	s_mul_i32 s1, s5, s6
	s_mul_hi_u32 s6, s4, s0
	v_cndmask_b32_e32 v11, v12, v33, vcc_lo
	v_cndmask_b32_e64 v12, v16, |v33|, vcc_lo
	s_addc_u32 s6, 0, s6
	s_add_u32 s1, s7, s1
	s_delay_alu instid0(VALU_DEP_3) | instskip(NEXT) | instid1(VALU_DEP_2)
	v_mad_u64_u32 v[15:16], null, v10, s18, v[13:14]
	v_cmp_lt_f32_e64 vcc_lo, v12, |v34|
	s_mul_i32 s0, s5, s0
	s_addc_u32 s1, s6, s8
	s_addc_u32 s6, s10, 0
	s_add_u32 s0, s1, s0
	v_cndmask_b32_e64 v12, v12, |v34|, vcc_lo
	v_cndmask_b32_e32 v11, v11, v34, vcc_lo
	s_addc_u32 s1, 0, s6
	s_waitcnt vmcnt(1)
	s_delay_alu instid0(VALU_DEP_2) | instskip(NEXT) | instid1(VALU_DEP_1)
	v_cmp_lt_f32_e64 vcc_lo, v12, |v35|
	v_cndmask_b32_e64 v17, v12, |v35|, vcc_lo
	v_dual_cndmask_b32 v14, v11, v35 :: v_dual_mov_b32 v11, v16
	v_add_co_u32 v16, s0, s4, s0
	s_delay_alu instid0(VALU_DEP_3) | instskip(SKIP_1) | instid1(VALU_DEP_3)
	v_cmp_lt_f32_e64 vcc_lo, v17, |v36|
	s_cmp_lg_u32 s0, 0
	v_mad_u64_u32 v[12:13], null, v10, s19, v[11:12]
	s_addc_u32 s0, s5, s1
	s_delay_alu instid0(VALU_DEP_2) | instskip(SKIP_3) | instid1(VALU_DEP_4)
	v_cndmask_b32_e64 v17, v17, |v36|, vcc_lo
	v_cndmask_b32_e32 v18, v14, v36, vcc_lo
	v_mad_u64_u32 v[10:11], null, v15, s0, 0
	v_mul_hi_u32 v19, v15, v16
	v_cmp_lt_f32_e64 vcc_lo, v17, |v37|
	v_mad_u64_u32 v[13:14], null, v12, v16, 0
	s_mov_b32 s4, 0xbd800000
	s_delay_alu instid0(VALU_DEP_2)
	v_cndmask_b32_e64 v17, v17, |v37|, vcc_lo
	v_cndmask_b32_e32 v16, v18, v37, vcc_lo
	v_add_co_u32 v18, vcc_lo, v19, v10
	v_add_co_ci_u32_e32 v19, vcc_lo, 0, v11, vcc_lo
	v_mad_u64_u32 v[10:11], null, v12, s0, 0
	v_cmp_lt_f32_e64 s0, v17, |v38|
	s_delay_alu instid0(VALU_DEP_4) | instskip(NEXT) | instid1(VALU_DEP_4)
	v_add_co_u32 v13, vcc_lo, v18, v13
	v_add_co_ci_u32_e32 v13, vcc_lo, v19, v14, vcc_lo
	s_delay_alu instid0(VALU_DEP_3) | instskip(SKIP_2) | instid1(VALU_DEP_4)
	v_cndmask_b32_e64 v17, v17, |v38|, s0
	v_cndmask_b32_e64 v16, v16, v38, s0
	v_add_co_ci_u32_e32 v11, vcc_lo, 0, v11, vcc_lo
	v_add_co_u32 v18, vcc_lo, v13, v10
	s_waitcnt vmcnt(0)
	v_cmp_lt_f32_e64 s0, v17, |v39|
	s_delay_alu instid0(VALU_DEP_3) | instskip(NEXT) | instid1(VALU_DEP_3)
	v_add_co_ci_u32_e32 v19, vcc_lo, 0, v11, vcc_lo
	v_mad_u64_u32 v[13:14], null, v18, 22, 0
	s_delay_alu instid0(VALU_DEP_3) | instskip(SKIP_2) | instid1(VALU_DEP_1)
	v_cndmask_b32_e64 v11, v16, v39, s0
	v_cndmask_b32_e64 v16, v17, |v39|, s0
	v_add_co_u32 v6, s0, v8, v6
	v_add_co_ci_u32_e64 v7, s0, v9, v7, s0
	s_delay_alu instid0(VALU_DEP_3) | instskip(SKIP_2) | instid1(VALU_DEP_3)
	v_cmp_lt_f32_e64 vcc_lo, v16, |v40|
	v_sub_co_u32 v9, s0, v15, v13
	v_mov_b32_e32 v10, 0
	v_cndmask_b32_e64 v21, v16, |v40|, vcc_lo
	v_cndmask_b32_e32 v20, v11, v40, vcc_lo
	v_mad_u64_u32 v[16:17], null, v19, 22, v[14:15]
	v_mov_b32_e32 v11, 0
	s_delay_alu instid0(VALU_DEP_4) | instskip(NEXT) | instid1(VALU_DEP_1)
	v_cmp_lt_f32_e64 vcc_lo, v21, |v41|
	v_cndmask_b32_e64 v13, v21, |v41|, vcc_lo
	v_cndmask_b32_e32 v8, v20, v41, vcc_lo
	v_sub_co_ci_u32_e64 v12, vcc_lo, v12, v16, s0
	v_sub_co_u32 v14, vcc_lo, v9, 22
	s_delay_alu instid0(VALU_DEP_4) | instskip(NEXT) | instid1(VALU_DEP_3)
	v_cmp_lt_f32_e64 s0, v13, |v42|
	v_subrev_co_ci_u32_e32 v17, vcc_lo, 0, v12, vcc_lo
	s_delay_alu instid0(VALU_DEP_3) | instskip(NEXT) | instid1(VALU_DEP_3)
	v_cmp_lt_u32_e32 vcc_lo, 21, v14
	v_cndmask_b32_e64 v13, v8, v42, s0
	v_add_co_u32 v8, s0, v18, 2
	v_cndmask_b32_e64 v14, 0, -1, vcc_lo
	v_cmp_lt_u32_e32 vcc_lo, 21, v9
	s_delay_alu instid0(VALU_DEP_4) | instskip(SKIP_2) | instid1(VALU_DEP_3)
	v_mul_f32_e32 v16, 0xbd800000, v13
	v_add_co_ci_u32_e64 v15, s0, 0, v19, s0
	v_add_co_u32 v4, s0, v6, v4
	v_div_scale_f32 v20, null, v16, v16, 1.0
	v_cndmask_b32_e64 v9, 0, -1, vcc_lo
	v_cmp_eq_u32_e32 vcc_lo, 0, v17
	v_add_co_ci_u32_e64 v5, s0, v7, v5, s0
	s_delay_alu instid0(VALU_DEP_4)
	v_rcp_f32_e32 v17, v20
	v_add_co_u32 v4, s1, v4, v43
	v_cndmask_b32_e32 v14, -1, v14, vcc_lo
	v_add_co_u32 v21, vcc_lo, v18, 1
	v_add_co_ci_u32_e32 v22, vcc_lo, 0, v19, vcc_lo
	v_cmp_eq_u32_e32 vcc_lo, 0, v12
	v_add_co_ci_u32_e64 v5, s1, v5, v44, s1
	s_delay_alu instid0(TRANS32_DEP_1)
	v_fma_f32 v7, -v20, v17, 1.0
	v_fma_mixlo_f16 v13, v13, s4, 0
	v_cndmask_b32_e32 v9, -1, v9, vcc_lo
	v_cmp_ne_u32_e32 vcc_lo, 0, v14
	s_mov_b32 s1, 0
	v_fmac_f32_e32 v17, v7, v17
	s_delay_alu instid0(VALU_DEP_3) | instskip(SKIP_3) | instid1(VALU_DEP_3)
	v_cmp_ne_u32_e64 s0, 0, v9
	v_cndmask_b32_e32 v6, v22, v15, vcc_lo
	v_cndmask_b32_e32 v8, v21, v8, vcc_lo
	v_div_scale_f32 v12, vcc_lo, 1.0, v16, 1.0
	v_cndmask_b32_e64 v6, v19, v6, s0
	s_delay_alu instid0(VALU_DEP_3) | instskip(NEXT) | instid1(VALU_DEP_3)
	v_cndmask_b32_e64 v7, v18, v8, s0
	v_mul_f32_e32 v14, v12, v17
	v_add_co_u32 v15, s0, v4, s24
	s_delay_alu instid0(VALU_DEP_4) | instskip(SKIP_1) | instid1(VALU_DEP_4)
	v_mul_lo_u32 v19, v6, 22
	v_add_co_ci_u32_e64 v18, s0, s25, v5, s0
	v_fma_f32 v6, -v20, v14, v12
	v_mad_u64_u32 v[4:5], null, v7, 22, s[2:3]
	v_mad_u64_u32 v[8:9], null, v7, 22, v[0:1]
	s_delay_alu instid0(VALU_DEP_3) | instskip(SKIP_1) | instid1(VALU_DEP_1)
	v_fmac_f32_e32 v14, v6, v17
	v_add_co_u32 v6, s0, v15, 64
	v_add_co_ci_u32_e64 v7, s0, 0, v18, s0
	s_delay_alu instid0(VALU_DEP_3) | instskip(SKIP_2) | instid1(VALU_DEP_3)
	v_fma_f32 v12, -v20, v14, v12
	v_add_nc_u32_e32 v5, v19, v5
	v_add_nc_u32_e32 v9, v19, v9
	v_div_fmas_f32 v12, v12, v17, v14
	v_add_co_u32 v4, vcc_lo, v4, v0
	s_delay_alu instid0(VALU_DEP_4)
	v_add_co_ci_u32_e32 v5, vcc_lo, 0, v5, vcc_lo
	v_add_co_u32 v0, vcc_lo, s2, v8
	v_add_co_ci_u32_e32 v8, vcc_lo, s3, v9, vcc_lo
	v_div_fixup_f32 v12, v12, v16, 1.0
	v_cmp_neq_f32_e32 vcc_lo, 0, v16
	s_mov_b64 s[2:3], 0
	global_store_b16 v[4:5], v13, off
	v_dual_cndmask_b32 v9, 0, v12 :: v_dual_mov_b32 v12, 0
.LBB14_2:                               ; =>This Inner Loop Header: Depth=1
	s_clause 0x1
	global_load_b64 v[13:14], v[6:7], off offset:-64
	global_load_b32 v17, v[6:7], off
	s_or_b32 s0, s2, 17
	v_lshlrev_b32_e32 v11, 16, v11
	s_lshl_b64 s[4:5], s[0:1], 2
	v_and_b32_e32 v1, 0xff, v1
	v_add_co_u32 v15, vcc_lo, v2, s4
	v_add_co_ci_u32_e32 v16, vcc_lo, s5, v3, vcc_lo
	v_perm_b32 v11, v12, v11, 0x4020c0c
	s_add_i32 s4, s2, 16
	s_add_i32 s5, s2, 1
	global_load_b32 v18, v[15:16], off
	v_lshlrev_b32_e32 v10, 8, v10
	s_delay_alu instid0(VALU_DEP_1) | instskip(NEXT) | instid1(VALU_DEP_1)
	v_and_b32_e32 v10, 0xff00, v10
	v_or3_b32 v1, v11, v10, v1
	s_waitcnt vmcnt(2)
	v_fmaak_f32 v13, v9, v13, 0x41840000
	s_waitcnt vmcnt(1)
	v_fmaak_f32 v15, v9, v17, 0x41840000
	v_fmaak_f32 v17, v9, v14, 0x41840000
	s_delay_alu instid0(VALU_DEP_3) | instskip(NEXT) | instid1(VALU_DEP_1)
	v_cvt_i32_f32_e32 v13, v13
	v_cvt_f64_i32_e32 v[13:14], v13
	s_waitcnt vmcnt(0)
	v_fmaak_f32 v19, v9, v18, 0x41840000
	s_delay_alu instid0(VALU_DEP_2) | instskip(NEXT) | instid1(VALU_DEP_1)
	v_min_f64 v[13:14], 0x403f0000, v[13:14]
	v_cvt_i32_f64_e32 v21, v[13:14]
	v_add_co_u32 v13, vcc_lo, v0, s2
	v_add_co_ci_u32_e32 v14, vcc_lo, s3, v8, vcc_lo
	v_add_co_u32 v6, vcc_lo, v6, 8
	v_add_co_ci_u32_e32 v7, vcc_lo, 0, v7, vcc_lo
	v_lshrrev_b16 v10, 4, v21
	v_and_b32_e32 v12, 15, v21
	v_cvt_i32_f32_e32 v17, v17
	s_delay_alu instid0(VALU_DEP_3) | instskip(SKIP_1) | instid1(VALU_DEP_3)
	v_and_b32_e32 v10, 1, v10
	v_cvt_i32_f32_e32 v15, v15
	v_cvt_f64_i32_e32 v[17:18], v17
	s_delay_alu instid0(VALU_DEP_3) | instskip(NEXT) | instid1(VALU_DEP_3)
	v_and_b32_e32 v10, 0xffff, v10
	v_cvt_f64_i32_e32 v[15:16], v15
	s_delay_alu instid0(VALU_DEP_2) | instskip(SKIP_3) | instid1(VALU_DEP_4)
	v_lshlrev_b32_e32 v10, s2, v10
	s_add_u32 s2, s2, 2
	s_addc_u32 s3, s3, 0
	s_cmp_lg_u32 s2, 16
	v_min_f64 v[17:18], 0x403f0000, v[17:18]
	s_delay_alu instid0(VALU_DEP_3) | instskip(NEXT) | instid1(VALU_DEP_1)
	v_min_f64 v[15:16], 0x403f0000, v[15:16]
	v_cvt_i32_f64_e32 v15, v[15:16]
	s_delay_alu instid0(VALU_DEP_3) | instskip(NEXT) | instid1(VALU_DEP_2)
	v_cvt_i32_f64_e32 v16, v[17:18]
	v_lshrrev_b16 v11, 4, v15
	s_delay_alu instid0(VALU_DEP_2)
	v_lshrrev_b16 v18, 4, v16
	v_and_b32_e32 v16, 15, v16
	v_cvt_i32_f32_e32 v19, v19
	v_lshlrev_b16 v15, 4, v15
	v_and_b32_e32 v11, 1, v11
	v_and_b32_e32 v18, 1, v18
	s_delay_alu instid0(VALU_DEP_4) | instskip(NEXT) | instid1(VALU_DEP_4)
	v_cvt_f64_i32_e32 v[19:20], v19
	v_or_b32_e32 v12, v15, v12
	s_delay_alu instid0(VALU_DEP_4) | instskip(NEXT) | instid1(VALU_DEP_4)
	v_and_b32_e32 v11, 0xffff, v11
	v_and_b32_e32 v15, 0xffff, v18
	s_delay_alu instid0(VALU_DEP_3) | instskip(NEXT) | instid1(VALU_DEP_3)
	v_and_b32_e32 v12, 0xff, v12
	v_lshlrev_b32_e32 v11, s4, v11
	s_delay_alu instid0(VALU_DEP_1) | instskip(SKIP_1) | instid1(VALU_DEP_2)
	v_or3_b32 v1, v10, v1, v11
	v_lshlrev_b16 v10, 8, v16
	v_lshl_or_b32 v1, v15, s5, v1
	v_min_f64 v[19:20], 0x403f0000, v[19:20]
	s_delay_alu instid0(VALU_DEP_1) | instskip(NEXT) | instid1(VALU_DEP_1)
	v_cvt_i32_f64_e32 v17, v[19:20]
	v_lshrrev_b16 v19, 4, v17
	v_lshlrev_b16 v11, 12, v17
	s_delay_alu instid0(VALU_DEP_2) | instskip(NEXT) | instid1(VALU_DEP_2)
	v_and_b32_e32 v18, 1, v19
	v_or_b32_e32 v10, v11, v10
	s_delay_alu instid0(VALU_DEP_2) | instskip(NEXT) | instid1(VALU_DEP_1)
	v_and_b32_e32 v16, 0xffff, v18
	v_lshl_or_b32 v15, v16, s0, v1
	s_delay_alu instid0(VALU_DEP_3) | instskip(SKIP_1) | instid1(VALU_DEP_3)
	v_or_b32_e32 v16, v12, v10
	v_lshrrev_b32_e32 v10, 8, v1
	v_lshrrev_b32_e32 v11, 16, v15
	;; [unrolled: 1-line block ×3, first 2 shown]
	global_store_b16 v[13:14], v16, off offset:6
	s_cbranch_scc1 .LBB14_2
; %bb.3:
	v_lshlrev_b16 v0, 8, v10
	v_and_b32_e32 v1, 0xff, v1
	v_lshlrev_b16 v2, 8, v12
	v_and_b32_e32 v3, 0xff, v11
	s_delay_alu instid0(VALU_DEP_3) | instskip(NEXT) | instid1(VALU_DEP_2)
	v_or_b32_e32 v0, v1, v0
	v_or_b32_e32 v1, v3, v2
	s_delay_alu instid0(VALU_DEP_2) | instskip(NEXT) | instid1(VALU_DEP_2)
	v_and_b32_e32 v0, 0xffff, v0
	v_lshlrev_b32_e32 v1, 16, v1
	s_delay_alu instid0(VALU_DEP_1)
	v_or_b32_e32 v0, v0, v1
	global_store_b32 v[4:5], v0, off offset:2
.LBB14_4:
	s_nop 0
	s_sendmsg sendmsg(MSG_DEALLOC_VGPRS)
	s_endpgm
	.section	.rodata,"a",@progbits
	.p2align	6, 0x0
	.amdhsa_kernel _ZL16k_set_rows_quantIi10block_q5_0Li32ETnPFvPKfPT0_EXadL_ZL23quantize_f32_q5_0_blockS2_PS0_EEEvS2_PKT_S4_llllllllllllll15HIP_vector_typeIjLj3EESC_SC_SC_SC_
		.amdhsa_group_segment_fixed_size 0
		.amdhsa_private_segment_fixed_size 0
		.amdhsa_kernarg_size 456
		.amdhsa_user_sgpr_count 15
		.amdhsa_user_sgpr_dispatch_ptr 0
		.amdhsa_user_sgpr_queue_ptr 0
		.amdhsa_user_sgpr_kernarg_segment_ptr 1
		.amdhsa_user_sgpr_dispatch_id 0
		.amdhsa_user_sgpr_private_segment_size 0
		.amdhsa_wavefront_size32 1
		.amdhsa_uses_dynamic_stack 0
		.amdhsa_enable_private_segment 0
		.amdhsa_system_sgpr_workgroup_id_x 1
		.amdhsa_system_sgpr_workgroup_id_y 0
		.amdhsa_system_sgpr_workgroup_id_z 0
		.amdhsa_system_sgpr_workgroup_info 0
		.amdhsa_system_vgpr_workitem_id 0
		.amdhsa_next_free_vgpr 48
		.amdhsa_next_free_sgpr 32
		.amdhsa_reserve_vcc 1
		.amdhsa_float_round_mode_32 0
		.amdhsa_float_round_mode_16_64 0
		.amdhsa_float_denorm_mode_32 3
		.amdhsa_float_denorm_mode_16_64 3
		.amdhsa_dx10_clamp 1
		.amdhsa_ieee_mode 1
		.amdhsa_fp16_overflow 0
		.amdhsa_workgroup_processor_mode 1
		.amdhsa_memory_ordered 1
		.amdhsa_forward_progress 0
		.amdhsa_shared_vgpr_count 0
		.amdhsa_exception_fp_ieee_invalid_op 0
		.amdhsa_exception_fp_denorm_src 0
		.amdhsa_exception_fp_ieee_div_zero 0
		.amdhsa_exception_fp_ieee_overflow 0
		.amdhsa_exception_fp_ieee_underflow 0
		.amdhsa_exception_fp_ieee_inexact 0
		.amdhsa_exception_int_div_zero 0
	.end_amdhsa_kernel
	.section	.text._ZL16k_set_rows_quantIi10block_q5_0Li32ETnPFvPKfPT0_EXadL_ZL23quantize_f32_q5_0_blockS2_PS0_EEEvS2_PKT_S4_llllllllllllll15HIP_vector_typeIjLj3EESC_SC_SC_SC_,"axG",@progbits,_ZL16k_set_rows_quantIi10block_q5_0Li32ETnPFvPKfPT0_EXadL_ZL23quantize_f32_q5_0_blockS2_PS0_EEEvS2_PKT_S4_llllllllllllll15HIP_vector_typeIjLj3EESC_SC_SC_SC_,comdat
.Lfunc_end14:
	.size	_ZL16k_set_rows_quantIi10block_q5_0Li32ETnPFvPKfPT0_EXadL_ZL23quantize_f32_q5_0_blockS2_PS0_EEEvS2_PKT_S4_llllllllllllll15HIP_vector_typeIjLj3EESC_SC_SC_SC_, .Lfunc_end14-_ZL16k_set_rows_quantIi10block_q5_0Li32ETnPFvPKfPT0_EXadL_ZL23quantize_f32_q5_0_blockS2_PS0_EEEvS2_PKT_S4_llllllllllllll15HIP_vector_typeIjLj3EESC_SC_SC_SC_
                                        ; -- End function
	.section	.AMDGPU.csdata,"",@progbits
; Kernel info:
; codeLenInByte = 2940
; NumSgprs: 34
; NumVgprs: 48
; ScratchSize: 0
; MemoryBound: 0
; FloatMode: 240
; IeeeMode: 1
; LDSByteSize: 0 bytes/workgroup (compile time only)
; SGPRBlocks: 4
; VGPRBlocks: 5
; NumSGPRsForWavesPerEU: 34
; NumVGPRsForWavesPerEU: 48
; Occupancy: 16
; WaveLimiterHint : 1
; COMPUTE_PGM_RSRC2:SCRATCH_EN: 0
; COMPUTE_PGM_RSRC2:USER_SGPR: 15
; COMPUTE_PGM_RSRC2:TRAP_HANDLER: 0
; COMPUTE_PGM_RSRC2:TGID_X_EN: 1
; COMPUTE_PGM_RSRC2:TGID_Y_EN: 0
; COMPUTE_PGM_RSRC2:TGID_Z_EN: 0
; COMPUTE_PGM_RSRC2:TIDIG_COMP_CNT: 0
	.section	.text._ZL16k_set_rows_quantIi10block_q5_1Li32ETnPFvPKfPT0_EXadL_ZL23quantize_f32_q5_1_blockS2_PS0_EEEvS2_PKT_S4_llllllllllllll15HIP_vector_typeIjLj3EESC_SC_SC_SC_,"axG",@progbits,_ZL16k_set_rows_quantIi10block_q5_1Li32ETnPFvPKfPT0_EXadL_ZL23quantize_f32_q5_1_blockS2_PS0_EEEvS2_PKT_S4_llllllllllllll15HIP_vector_typeIjLj3EESC_SC_SC_SC_,comdat
	.globl	_ZL16k_set_rows_quantIi10block_q5_1Li32ETnPFvPKfPT0_EXadL_ZL23quantize_f32_q5_1_blockS2_PS0_EEEvS2_PKT_S4_llllllllllllll15HIP_vector_typeIjLj3EESC_SC_SC_SC_ ; -- Begin function _ZL16k_set_rows_quantIi10block_q5_1Li32ETnPFvPKfPT0_EXadL_ZL23quantize_f32_q5_1_blockS2_PS0_EEEvS2_PKT_S4_llllllllllllll15HIP_vector_typeIjLj3EESC_SC_SC_SC_
	.p2align	8
	.type	_ZL16k_set_rows_quantIi10block_q5_1Li32ETnPFvPKfPT0_EXadL_ZL23quantize_f32_q5_1_blockS2_PS0_EEEvS2_PKT_S4_llllllllllllll15HIP_vector_typeIjLj3EESC_SC_SC_SC_,@function
_ZL16k_set_rows_quantIi10block_q5_1Li32ETnPFvPKfPT0_EXadL_ZL23quantize_f32_q5_1_blockS2_PS0_EEEvS2_PKT_S4_llllllllllllll15HIP_vector_typeIjLj3EESC_SC_SC_SC_: ; @_ZL16k_set_rows_quantIi10block_q5_1Li32ETnPFvPKfPT0_EXadL_ZL23quantize_f32_q5_1_blockS2_PS0_EEEvS2_PKT_S4_llllllllllllll15HIP_vector_typeIjLj3EESC_SC_SC_SC_
; %bb.0:
	s_clause 0x1
	s_load_b32 s4, s[0:1], 0xd4
	s_load_b64 s[2:3], s[0:1], 0x18
	v_mov_b32_e32 v1, 0
	s_waitcnt lgkmcnt(0)
	s_and_b32 s4, s4, 0xffff
	s_delay_alu instid0(VALU_DEP_1) | instid1(SALU_CYCLE_1)
	v_mad_u64_u32 v[2:3], null, s4, s15, v[0:1]
	s_delay_alu instid0(VALU_DEP_1)
	v_cmp_gt_i64_e32 vcc_lo, s[2:3], v[2:3]
	s_and_saveexec_b32 s2, vcc_lo
	s_cbranch_execz .LBB15_4
; %bb.1:
	s_load_b256 s[20:27], s[0:1], 0x88
	v_lshlrev_b32_e32 v14, 5, v2
	s_clause 0x2
	s_load_b128 s[28:31], s[0:1], 0xa8
	s_load_b512 s[4:19], s[0:1], 0x40
	s_load_b64 s[2:3], s[0:1], 0x10
	s_waitcnt lgkmcnt(0)
	v_mul_hi_u32 v0, s20, v14
	s_delay_alu instid0(VALU_DEP_1) | instskip(NEXT) | instid1(VALU_DEP_1)
	v_add_nc_u32_e32 v0, v14, v0
	v_lshrrev_b32_e32 v11, s21, v0
	s_delay_alu instid0(VALU_DEP_1) | instskip(SKIP_1) | instid1(VALU_DEP_2)
	v_mul_hi_u32 v0, v11, s23
	v_mul_lo_u32 v15, v11, s22
	v_add_nc_u32_e32 v0, v11, v0
	s_delay_alu instid0(VALU_DEP_1) | instskip(NEXT) | instid1(VALU_DEP_1)
	v_lshrrev_b32_e32 v0, s24, v0
	v_mul_hi_u32 v2, v0, s26
	s_delay_alu instid0(VALU_DEP_1) | instskip(NEXT) | instid1(VALU_DEP_1)
	v_add_nc_u32_e32 v2, v0, v2
	v_lshrrev_b32_e32 v13, s27, v2
	v_mul_lo_u32 v2, v0, s25
	s_load_b128 s[24:27], s[0:1], 0x0
	s_delay_alu instid0(VALU_DEP_2) | instskip(SKIP_1) | instid1(VALU_DEP_3)
	v_mul_lo_u32 v3, v13, s28
	v_mad_u64_u32 v[8:9], null, v13, s8, 0
	v_sub_nc_u32_e32 v27, v11, v2
	s_delay_alu instid0(VALU_DEP_3) | instskip(NEXT) | instid1(VALU_DEP_2)
	v_sub_nc_u32_e32 v12, v0, v3
	v_mad_u64_u32 v[2:3], null, v27, s4, 0
	v_mad_u64_u32 v[30:31], null, v27, s10, 0
	s_delay_alu instid0(VALU_DEP_3) | instskip(SKIP_2) | instid1(VALU_DEP_4)
	v_mad_u64_u32 v[6:7], null, v12, s6, 0
	v_mul_hi_u32 v22, v12, s29
	s_load_b32 s6, s[0:1], 0xc0
	v_mov_b32_e32 v0, v3
	s_delay_alu instid0(VALU_DEP_3) | instskip(NEXT) | instid1(VALU_DEP_2)
	v_mov_b32_e32 v3, v7
	v_mad_u64_u32 v[4:5], null, v27, s5, v[0:1]
	s_load_b64 s[4:5], s[0:1], 0xb8
	s_delay_alu instid0(VALU_DEP_4) | instskip(SKIP_1) | instid1(VALU_DEP_1)
	v_add_nc_u32_e32 v22, v12, v22
	s_load_b64 s[0:1], s[0:1], 0x80
	v_lshrrev_b32_e32 v22, s30, v22
	s_delay_alu instid0(VALU_DEP_1) | instskip(NEXT) | instid1(VALU_DEP_1)
	v_mul_lo_u32 v28, v22, s31
	v_sub_nc_u32_e32 v39, v12, v28
	s_waitcnt lgkmcnt(0)
	v_mul_hi_u32 v23, v13, s4
	s_add_u32 s4, 0, 0xaaaa0000
	s_delay_alu instid0(VALU_DEP_2) | instskip(NEXT) | instid1(VALU_DEP_2)
	v_mad_u64_u32 v[32:33], null, v39, s12, 0
	v_add_nc_u32_e32 v23, v13, v23
	s_delay_alu instid0(VALU_DEP_1) | instskip(SKIP_1) | instid1(SALU_CYCLE_1)
	v_lshrrev_b32_e32 v26, s5, v23
	s_addc_u32 s5, 0, 42
	s_add_i32 s5, s5, 0xaaaaa80
	s_delay_alu instid0(VALU_DEP_1) | instskip(SKIP_1) | instid1(SALU_CYCLE_1)
	v_mul_lo_u32 v26, v26, s6
	s_mul_i32 s6, s4, 0xffffffe8
	s_mul_hi_u32 s8, s4, s6
	s_mul_hi_u32 s10, s5, s6
	s_mul_i32 s6, s5, s6
	s_delay_alu instid0(VALU_DEP_1) | instskip(SKIP_1) | instid1(VALU_DEP_2)
	v_sub_nc_u32_e32 v40, v13, v26
	v_dual_mov_b32 v26, v31 :: v_dual_mov_b32 v31, v33
	v_mad_u64_u32 v[34:35], null, v40, s14, 0
	v_mov_b32_e32 v0, v9
	v_mad_u64_u32 v[9:10], null, v12, s7, v[3:4]
	v_mov_b32_e32 v3, v4
	;; [unrolled: 2-line block ×4, first 2 shown]
	v_lshlrev_b64 v[4:5], 2, v[2:3]
	v_sub_nc_u32_e32 v0, v14, v15
	v_mad_u64_u32 v[37:38], null, v39, s13, v[31:32]
	s_delay_alu instid0(VALU_DEP_4) | instskip(SKIP_3) | instid1(VALU_DEP_3)
	v_lshlrev_b64 v[6:7], 2, v[6:7]
	v_mov_b32_e32 v9, v10
	v_add_co_u32 v2, vcc_lo, s24, v4
	v_add_co_ci_u32_e32 v3, vcc_lo, s25, v5, vcc_lo
	v_lshlrev_b64 v[8:9], 2, v[8:9]
	s_delay_alu instid0(VALU_DEP_3) | instskip(NEXT) | instid1(VALU_DEP_3)
	v_add_co_u32 v2, vcc_lo, v2, v6
	v_add_co_ci_u32_e32 v3, vcc_lo, v3, v7, vcc_lo
	v_lshlrev_b64 v[10:11], 2, v[0:1]
	s_delay_alu instid0(VALU_DEP_3) | instskip(NEXT) | instid1(VALU_DEP_3)
	v_add_co_u32 v2, vcc_lo, v2, v8
	v_add_co_ci_u32_e32 v3, vcc_lo, v3, v9, vcc_lo
	v_mov_b32_e32 v31, v36
	s_delay_alu instid0(VALU_DEP_3) | instskip(NEXT) | instid1(VALU_DEP_3)
	v_add_co_u32 v2, vcc_lo, v2, v10
	v_add_co_ci_u32_e32 v3, vcc_lo, v3, v11, vcc_lo
	s_delay_alu instid0(VALU_DEP_3)
	v_lshlrev_b64 v[30:31], 2, v[30:31]
	v_mad_u64_u32 v[35:36], null, v40, s15, v[33:34]
	s_clause 0x3
	global_load_b128 v[14:17], v[2:3], off
	global_load_b128 v[18:21], v[2:3], off offset:16
	global_load_b128 v[22:25], v[2:3], off offset:32
	;; [unrolled: 1-line block ×3, first 2 shown]
	v_mov_b32_e32 v33, v37
	v_add_co_u32 v38, vcc_lo, s26, v30
	v_add_co_ci_u32_e32 v39, vcc_lo, s27, v31, vcc_lo
	s_delay_alu instid0(VALU_DEP_3)
	v_lshlrev_b64 v[36:37], 2, v[32:33]
	global_load_b128 v[30:33], v[2:3], off offset:64
	v_lshlrev_b64 v[34:35], 2, v[34:35]
	s_mul_hi_u32 s7, s4, 0xffffffe8
	s_mul_i32 s9, s5, 0xffffffe8
	s_sub_i32 s7, s7, s4
	v_add_co_u32 v36, vcc_lo, v38, v36
	v_add_co_ci_u32_e32 v37, vcc_lo, v39, v37, vcc_lo
	s_add_i32 s7, s7, s9
	s_delay_alu instid0(VALU_DEP_2) | instskip(NEXT) | instid1(VALU_DEP_2)
	v_add_co_u32 v34, vcc_lo, v36, v34
	v_add_co_ci_u32_e32 v35, vcc_lo, v37, v35, vcc_lo
	global_load_b32 v46, v[34:35], off
	s_clause 0x2
	global_load_b128 v[34:37], v[2:3], off offset:80
	global_load_b128 v[38:41], v[2:3], off offset:96
	;; [unrolled: 1-line block ×3, first 2 shown]
	s_mul_i32 s11, s4, s7
	s_mul_hi_u32 s9, s4, s7
	s_add_u32 s8, s8, s11
	s_addc_u32 s9, 0, s9
	s_mul_hi_u32 s12, s5, s7
	s_mul_i32 s7, s5, s7
	v_lshrrev_b32_e32 v0, 5, v0
	s_delay_alu instid0(VALU_DEP_1)
	v_mul_lo_u32 v0, v0, 24
	s_waitcnt vmcnt(8)
	v_cmp_lt_f32_e32 vcc_lo, v15, v14
	v_cndmask_b32_e32 v47, v14, v15, vcc_lo
	v_cmp_gt_f32_e32 vcc_lo, v15, v14
	v_cndmask_b32_e32 v14, v14, v15, vcc_lo
	s_delay_alu instid0(VALU_DEP_3) | instskip(SKIP_1) | instid1(VALU_DEP_3)
	v_cmp_lt_f32_e32 vcc_lo, v16, v47
	v_cndmask_b32_e32 v15, v47, v16, vcc_lo
	v_cmp_gt_f32_e32 vcc_lo, v16, v14
	v_cndmask_b32_e32 v14, v14, v16, vcc_lo
	s_delay_alu instid0(VALU_DEP_3) | instskip(SKIP_4) | instid1(VALU_DEP_3)
	v_cmp_lt_f32_e32 vcc_lo, v17, v15
	s_waitcnt vmcnt(3)
	v_ashrrev_i32_e32 v16, 31, v46
	v_cndmask_b32_e32 v15, v15, v17, vcc_lo
	v_cmp_gt_f32_e32 vcc_lo, v17, v14
	v_mul_lo_u32 v16, v16, s16
	v_cndmask_b32_e32 v14, v14, v17, vcc_lo
	s_delay_alu instid0(VALU_DEP_4) | instskip(SKIP_2) | instid1(VALU_DEP_4)
	v_cmp_lt_f32_e32 vcc_lo, v18, v15
	v_mul_lo_u32 v17, v46, s17
	v_cndmask_b32_e32 v15, v15, v18, vcc_lo
	v_cmp_gt_f32_e32 vcc_lo, v18, v14
	v_cndmask_b32_e32 v14, v14, v18, vcc_lo
	s_delay_alu instid0(VALU_DEP_3) | instskip(SKIP_1) | instid1(VALU_DEP_3)
	v_cmp_lt_f32_e32 vcc_lo, v19, v15
	v_cndmask_b32_e32 v15, v15, v19, vcc_lo
	v_cmp_gt_f32_e32 vcc_lo, v19, v14
	v_cndmask_b32_e32 v14, v14, v19, vcc_lo
	s_delay_alu instid0(VALU_DEP_3) | instskip(SKIP_1) | instid1(VALU_DEP_3)
	v_cmp_lt_f32_e32 vcc_lo, v20, v15
	;; [unrolled: 5-line block ×14, first 2 shown]
	v_cndmask_b32_e32 v18, v15, v32, vcc_lo
	v_cmp_gt_f32_e32 vcc_lo, v32, v14
	v_cndmask_b32_e32 v19, v14, v32, vcc_lo
	s_delay_alu instid0(VALU_DEP_3) | instskip(SKIP_2) | instid1(VALU_DEP_4)
	v_cmp_lt_f32_e32 vcc_lo, v33, v18
	v_mad_u64_u32 v[14:15], null, v46, s16, 0
	v_cndmask_b32_e32 v18, v18, v33, vcc_lo
	v_cmp_gt_f32_e32 vcc_lo, v33, v19
	s_delay_alu instid0(VALU_DEP_3) | instskip(SKIP_3) | instid1(VALU_DEP_3)
	v_add3_u32 v15, v15, v17, v16
	v_cndmask_b32_e32 v19, v19, v33, vcc_lo
	s_waitcnt vmcnt(2)
	v_cmp_lt_f32_e32 vcc_lo, v34, v18
	v_mad_u64_u32 v[16:17], null, v13, s0, v[14:15]
	s_add_u32 s0, s8, s6
	v_cndmask_b32_e32 v18, v18, v34, vcc_lo
	v_cmp_gt_f32_e32 vcc_lo, v34, v19
	s_addc_u32 s0, s9, s10
	s_addc_u32 s6, s12, 0
	s_add_u32 s0, s0, s7
	v_cndmask_b32_e32 v19, v19, v34, vcc_lo
	v_cmp_lt_f32_e32 vcc_lo, v35, v18
	v_add_co_u32 v21, s0, s4, s0
	v_cndmask_b32_e32 v18, v18, v35, vcc_lo
	s_delay_alu instid0(VALU_DEP_4) | instskip(SKIP_1) | instid1(VALU_DEP_3)
	v_cmp_gt_f32_e32 vcc_lo, v35, v19
	v_cndmask_b32_e32 v19, v19, v35, vcc_lo
	v_cmp_lt_f32_e32 vcc_lo, v36, v18
	v_cndmask_b32_e32 v14, v18, v36, vcc_lo
	s_delay_alu instid0(VALU_DEP_3) | instskip(SKIP_1) | instid1(VALU_DEP_3)
	v_cmp_gt_f32_e32 vcc_lo, v36, v19
	v_cndmask_b32_e32 v15, v19, v36, vcc_lo
	v_cmp_lt_f32_e32 vcc_lo, v37, v14
	v_cndmask_b32_e32 v18, v14, v37, vcc_lo
	s_delay_alu instid0(VALU_DEP_3) | instskip(SKIP_2) | instid1(VALU_DEP_3)
	v_cmp_gt_f32_e32 vcc_lo, v37, v15
	v_dual_mov_b32 v14, v17 :: v_dual_cndmask_b32 v15, v15, v37
	s_waitcnt vmcnt(1)
	v_cmp_lt_f32_e32 vcc_lo, v38, v18
	v_cndmask_b32_e32 v19, v18, v38, vcc_lo
	s_delay_alu instid0(VALU_DEP_3) | instskip(SKIP_1) | instid1(VALU_DEP_3)
	v_cmp_gt_f32_e32 vcc_lo, v38, v15
	v_cndmask_b32_e32 v15, v15, v38, vcc_lo
	v_cmp_lt_f32_e32 vcc_lo, v39, v19
	s_delay_alu instid0(VALU_DEP_2)
	v_mad_u64_u32 v[17:18], null, v13, s1, v[14:15]
	v_cndmask_b32_e32 v13, v19, v39, vcc_lo
	v_cmp_gt_f32_e32 vcc_lo, v39, v15
	s_addc_u32 s1, 0, s6
	s_cmp_lg_u32 s0, 0
	s_addc_u32 s0, s5, s1
	v_cndmask_b32_e32 v14, v15, v39, vcc_lo
	v_cmp_lt_f32_e32 vcc_lo, v40, v13
	v_mad_u64_u32 v[18:19], null, v12, s18, v[16:17]
	v_cndmask_b32_e32 v13, v13, v40, vcc_lo
	s_delay_alu instid0(VALU_DEP_4) | instskip(SKIP_1) | instid1(VALU_DEP_3)
	v_cmp_gt_f32_e32 vcc_lo, v40, v14
	v_cndmask_b32_e32 v14, v14, v40, vcc_lo
	v_cmp_lt_f32_e32 vcc_lo, v41, v13
	v_cndmask_b32_e32 v13, v13, v41, vcc_lo
	s_delay_alu instid0(VALU_DEP_3) | instskip(SKIP_2) | instid1(VALU_DEP_3)
	v_cmp_gt_f32_e32 vcc_lo, v41, v14
	v_cndmask_b32_e32 v14, v14, v41, vcc_lo
	s_waitcnt vmcnt(0)
	v_cmp_lt_f32_e32 vcc_lo, v42, v13
	v_cndmask_b32_e32 v15, v13, v42, vcc_lo
	s_delay_alu instid0(VALU_DEP_3) | instskip(SKIP_1) | instid1(VALU_DEP_3)
	v_cmp_gt_f32_e32 vcc_lo, v42, v14
	v_cndmask_b32_e32 v14, v14, v42, vcc_lo
	v_cmp_lt_f32_e32 vcc_lo, v43, v15
	v_cndmask_b32_e32 v16, v15, v43, vcc_lo
	s_delay_alu instid0(VALU_DEP_3) | instskip(SKIP_1) | instid1(VALU_DEP_3)
	v_cmp_gt_f32_e32 vcc_lo, v43, v14
	v_cndmask_b32_e32 v17, v14, v43, vcc_lo
	v_cmp_lt_f32_e32 vcc_lo, v44, v16
	v_mov_b32_e32 v13, v19
	v_mad_u64_u32 v[14:15], null, v18, s0, 0
	v_cndmask_b32_e32 v19, v16, v44, vcc_lo
	v_cmp_gt_f32_e32 vcc_lo, v44, v17
	v_cndmask_b32_e32 v20, v17, v44, vcc_lo
	s_delay_alu instid0(VALU_DEP_3)
	v_cmp_lt_f32_e32 vcc_lo, v45, v19
	v_mad_u64_u32 v[16:17], null, v12, s19, v[13:14]
	v_mul_hi_u32 v17, v18, v21
	v_cndmask_b32_e32 v12, v19, v45, vcc_lo
	v_cmp_gt_f32_e32 vcc_lo, v45, v20
	v_cndmask_b32_e32 v13, v20, v45, vcc_lo
	v_mad_u64_u32 v[19:20], null, v16, v21, 0
	v_mad_u64_u32 v[21:22], null, v16, s0, 0
	s_delay_alu instid0(VALU_DEP_3) | instskip(SKIP_2) | instid1(VALU_DEP_3)
	v_sub_f32_e32 v23, v13, v12
	v_add_co_u32 v13, vcc_lo, v17, v14
	v_add_co_ci_u32_e32 v14, vcc_lo, 0, v15, vcc_lo
	v_div_scale_f32 v17, null, 0x41f80000, 0x41f80000, v23
	s_delay_alu instid0(VALU_DEP_3) | instskip(NEXT) | instid1(VALU_DEP_3)
	v_add_co_u32 v13, vcc_lo, v13, v19
	v_add_co_ci_u32_e32 v13, vcc_lo, v14, v20, vcc_lo
	s_delay_alu instid0(VALU_DEP_3) | instskip(SKIP_1) | instid1(VALU_DEP_2)
	v_rcp_f32_e32 v24, v17
	v_add_co_ci_u32_e32 v14, vcc_lo, 0, v22, vcc_lo
	v_add_co_u32 v22, vcc_lo, v13, v21
	v_add_co_u32 v6, s0, v8, v6
	s_delay_alu instid0(VALU_DEP_3) | instskip(NEXT) | instid1(VALU_DEP_3)
	v_add_co_ci_u32_e32 v25, vcc_lo, 0, v14, vcc_lo
	v_mad_u64_u32 v[19:20], null, v22, 24, 0
	s_waitcnt_depctr 0xfff
	v_fma_f32 v13, -v17, v24, 1.0
	v_div_scale_f32 v26, vcc_lo, v23, 0x41f80000, v23
	v_add_co_ci_u32_e64 v7, s0, v9, v7, s0
	s_delay_alu instid0(VALU_DEP_3) | instskip(SKIP_1) | instid1(VALU_DEP_2)
	v_dual_fmac_f32 v24, v13, v24 :: v_dual_mov_b32 v15, v20
	v_sub_co_u32 v8, s0, v18, v19
	v_dual_mov_b32 v14, 0 :: v_dual_mul_f32 v27, v26, v24
	s_delay_alu instid0(VALU_DEP_3) | instskip(NEXT) | instid1(VALU_DEP_2)
	v_mad_u64_u32 v[20:21], null, v25, 24, v[15:16]
	v_fma_f32 v15, -v17, v27, v26
	s_delay_alu instid0(VALU_DEP_2) | instskip(NEXT) | instid1(VALU_DEP_2)
	v_sub_co_ci_u32_e64 v9, s0, v16, v20, s0
	v_fmac_f32_e32 v27, v15, v24
	v_sub_co_u32 v16, s0, v8, 24
	s_delay_alu instid0(VALU_DEP_2) | instskip(NEXT) | instid1(VALU_DEP_1)
	v_fma_f32 v15, -v17, v27, v26
	v_div_fmas_f32 v15, v15, v24, v27
	v_add_co_u32 v17, vcc_lo, v22, 2
	v_add_co_ci_u32_e32 v18, vcc_lo, 0, v25, vcc_lo
	v_subrev_co_ci_u32_e64 v19, vcc_lo, 0, v9, s0
	v_cmp_lt_u32_e32 vcc_lo, 23, v16
	v_div_fixup_f32 v15, v15, 0x41f80000, v23
	v_add_co_u32 v4, s0, v6, v4
	s_delay_alu instid0(VALU_DEP_1)
	v_add_co_ci_u32_e64 v5, s0, v7, v5, s0
	v_cndmask_b32_e64 v16, 0, -1, vcc_lo
	v_cmp_lt_u32_e32 vcc_lo, 23, v8
	v_div_scale_f32 v20, null, v15, v15, 1.0
	v_add_co_u32 v4, s1, v4, v10
	v_cndmask_b32_e64 v8, 0, -1, vcc_lo
	v_cmp_eq_u32_e32 vcc_lo, 0, v19
	s_delay_alu instid0(VALU_DEP_4)
	v_rcp_f32_e32 v19, v20
	v_add_co_ci_u32_e64 v5, s1, v5, v11, s1
	s_mov_b32 s1, 0
	v_cndmask_b32_e32 v16, -1, v16, vcc_lo
	v_add_co_u32 v21, vcc_lo, v22, 1
	v_add_co_ci_u32_e32 v23, vcc_lo, 0, v25, vcc_lo
	v_cmp_eq_u32_e32 vcc_lo, 0, v9
	v_mov_b32_e32 v13, 0
	s_delay_alu instid0(TRANS32_DEP_1) | instskip(SKIP_2) | instid1(VALU_DEP_3)
	v_fma_f32 v7, -v20, v19, 1.0
	v_cndmask_b32_e32 v8, -1, v8, vcc_lo
	v_cmp_ne_u32_e32 vcc_lo, 0, v16
	v_fmac_f32_e32 v19, v7, v19
	s_delay_alu instid0(VALU_DEP_3) | instskip(SKIP_3) | instid1(VALU_DEP_3)
	v_cmp_ne_u32_e64 s0, 0, v8
	v_cndmask_b32_e32 v6, v23, v18, vcc_lo
	v_cndmask_b32_e32 v8, v21, v17, vcc_lo
	v_div_scale_f32 v16, vcc_lo, 1.0, v15, 1.0
	v_cndmask_b32_e64 v6, v25, v6, s0
	s_delay_alu instid0(VALU_DEP_3) | instskip(NEXT) | instid1(VALU_DEP_3)
	v_cndmask_b32_e64 v7, v22, v8, s0
	v_mul_f32_e32 v10, v16, v19
	v_add_co_u32 v11, s0, v4, s24
	s_delay_alu instid0(VALU_DEP_4) | instskip(SKIP_1) | instid1(VALU_DEP_4)
	v_mul_lo_u32 v18, v6, 24
	v_add_co_ci_u32_e64 v17, s0, s25, v5, s0
	v_fma_f32 v6, -v20, v10, v16
	v_mad_u64_u32 v[4:5], null, v7, 24, s[2:3]
	v_mad_u64_u32 v[8:9], null, v7, 24, v[0:1]
	s_delay_alu instid0(VALU_DEP_3) | instskip(SKIP_3) | instid1(VALU_DEP_4)
	v_fmac_f32_e32 v10, v6, v19
	v_add_co_u32 v6, s0, v11, 64
	v_cvt_f16_f32_e32 v11, v12
	v_add_nc_u32_e32 v5, v18, v5
	v_fma_f32 v16, -v20, v10, v16
	v_add_nc_u32_e32 v9, v18, v9
	v_add_co_ci_u32_e64 v7, s0, 0, v17, s0
	s_delay_alu instid0(VALU_DEP_3)
	v_div_fmas_f32 v10, v16, v19, v10
	v_add_co_u32 v4, vcc_lo, v4, v0
	v_add_co_ci_u32_e32 v5, vcc_lo, 0, v5, vcc_lo
	v_add_co_u32 v0, vcc_lo, s2, v8
	v_add_co_ci_u32_e32 v8, vcc_lo, s3, v9, vcc_lo
	v_cvt_f16_f32_e32 v16, v15
	v_div_fixup_f32 v10, v10, v15, 1.0
	v_cmp_neq_f32_e32 vcc_lo, 0, v15
	s_mov_b64 s[2:3], 0
	s_delay_alu instid0(VALU_DEP_3) | instskip(NEXT) | instid1(VALU_DEP_3)
	v_pack_b32_f16 v11, v16, v11
	v_dual_cndmask_b32 v9, 0, v10 :: v_dual_mov_b32 v10, 0
	global_store_b32 v[4:5], v11, off
.LBB15_2:                               ; =>This Inner Loop Header: Depth=1
	s_or_b32 s0, s2, 17
	s_clause 0x1
	global_load_b64 v[15:16], v[6:7], off offset:-64
	global_load_b32 v11, v[6:7], off
	s_lshl_b64 s[4:5], s[0:1], 2
	v_lshlrev_b32_e32 v14, 16, v14
	v_add_co_u32 v17, vcc_lo, v2, s4
	v_add_co_ci_u32_e32 v18, vcc_lo, s5, v3, vcc_lo
	v_lshlrev_b32_e32 v13, 8, v13
	s_add_i32 s4, s2, 16
	s_add_i32 s5, s2, 1
	global_load_b32 v19, v[17:18], off
	v_and_b32_e32 v1, 0xff, v1
	v_and_b32_e32 v13, 0xff00, v13
	v_add_co_u32 v17, vcc_lo, v0, s2
	v_add_co_ci_u32_e32 v18, vcc_lo, s3, v8, vcc_lo
	v_add_co_u32 v6, vcc_lo, v6, 8
	v_add_co_ci_u32_e32 v7, vcc_lo, 0, v7, vcc_lo
	s_waitcnt vmcnt(1)
	v_sub_f32_e32 v11, v11, v12
	v_perm_b32 v10, v10, v14, 0x4020c0c
	s_delay_alu instid0(VALU_DEP_2) | instskip(SKIP_2) | instid1(VALU_DEP_3)
	v_fma_f32 v11, v9, v11, 0.5
	s_waitcnt vmcnt(0)
	v_sub_f32_e32 v14, v19, v12
	v_or3_b32 v1, v10, v13, v1
	v_sub_f32_e32 v10, v15, v12
	v_cvt_i32_f32_e32 v11, v11
	s_delay_alu instid0(VALU_DEP_4) | instskip(NEXT) | instid1(VALU_DEP_3)
	v_fma_f32 v14, v9, v14, 0.5
	v_fma_f32 v10, v9, v10, 0.5
	s_delay_alu instid0(VALU_DEP_2) | instskip(NEXT) | instid1(VALU_DEP_2)
	v_cvt_i32_f32_e32 v14, v14
	v_cvt_i32_f32_e32 v10, v10
	v_sub_f32_e32 v13, v16, v12
	v_lshrrev_b16 v16, 4, v11
	v_lshlrev_b16 v11, 4, v11
	v_lshrrev_b16 v20, 4, v14
	v_lshrrev_b16 v15, 4, v10
	v_and_b32_e32 v10, 15, v10
	v_fma_f32 v13, v9, v13, 0.5
	v_and_b32_e32 v16, 1, v16
	v_lshlrev_b16 v14, 12, v14
	v_and_b32_e32 v15, 1, v15
	v_or_b32_e32 v10, v11, v10
	v_cvt_i32_f32_e32 v13, v13
	v_and_b32_e32 v16, 0xffff, v16
	s_delay_alu instid0(VALU_DEP_4) | instskip(NEXT) | instid1(VALU_DEP_4)
	v_and_b32_e32 v15, 0xffff, v15
	v_and_b32_e32 v10, 0xff, v10
	s_delay_alu instid0(VALU_DEP_4)
	v_and_b32_e32 v19, 15, v13
	v_lshrrev_b16 v13, 4, v13
	v_lshlrev_b32_e32 v16, s4, v16
	v_lshlrev_b32_e32 v15, s2, v15
	s_add_u32 s2, s2, 2
	s_addc_u32 s3, s3, 0
	v_and_b32_e32 v13, 1, v13
	s_cmp_lg_u32 s2, 16
	v_or3_b32 v1, v15, v1, v16
	v_lshlrev_b16 v15, 8, v19
	s_delay_alu instid0(VALU_DEP_3) | instskip(SKIP_1) | instid1(VALU_DEP_2)
	v_and_b32_e32 v11, 0xffff, v13
	v_and_b32_e32 v13, 1, v20
	v_lshl_or_b32 v1, v11, s5, v1
	s_delay_alu instid0(VALU_DEP_2) | instskip(SKIP_1) | instid1(VALU_DEP_2)
	v_and_b32_e32 v13, 0xffff, v13
	v_or_b32_e32 v11, v14, v15
	v_lshl_or_b32 v15, v13, s0, v1
	s_delay_alu instid0(VALU_DEP_2) | instskip(SKIP_1) | instid1(VALU_DEP_3)
	v_or_b32_e32 v11, v10, v11
	v_lshrrev_b32_e32 v13, 8, v1
	v_lshrrev_b32_e32 v14, 16, v15
	;; [unrolled: 1-line block ×3, first 2 shown]
	global_store_b16 v[17:18], v11, off offset:8
	s_cbranch_scc1 .LBB15_2
; %bb.3:
	v_lshlrev_b16 v0, 8, v13
	v_and_b32_e32 v1, 0xff, v1
	v_lshlrev_b16 v2, 8, v10
	v_and_b32_e32 v3, 0xff, v14
	s_delay_alu instid0(VALU_DEP_3) | instskip(NEXT) | instid1(VALU_DEP_2)
	v_or_b32_e32 v0, v1, v0
	v_or_b32_e32 v1, v3, v2
	s_delay_alu instid0(VALU_DEP_2) | instskip(NEXT) | instid1(VALU_DEP_2)
	v_and_b32_e32 v0, 0xffff, v0
	v_lshlrev_b32_e32 v1, 16, v1
	s_delay_alu instid0(VALU_DEP_1)
	v_or_b32_e32 v0, v0, v1
	global_store_b32 v[4:5], v0, off offset:4
.LBB15_4:
	s_nop 0
	s_sendmsg sendmsg(MSG_DEALLOC_VGPRS)
	s_endpgm
	.section	.rodata,"a",@progbits
	.p2align	6, 0x0
	.amdhsa_kernel _ZL16k_set_rows_quantIi10block_q5_1Li32ETnPFvPKfPT0_EXadL_ZL23quantize_f32_q5_1_blockS2_PS0_EEEvS2_PKT_S4_llllllllllllll15HIP_vector_typeIjLj3EESC_SC_SC_SC_
		.amdhsa_group_segment_fixed_size 0
		.amdhsa_private_segment_fixed_size 0
		.amdhsa_kernarg_size 456
		.amdhsa_user_sgpr_count 15
		.amdhsa_user_sgpr_dispatch_ptr 0
		.amdhsa_user_sgpr_queue_ptr 0
		.amdhsa_user_sgpr_kernarg_segment_ptr 1
		.amdhsa_user_sgpr_dispatch_id 0
		.amdhsa_user_sgpr_private_segment_size 0
		.amdhsa_wavefront_size32 1
		.amdhsa_uses_dynamic_stack 0
		.amdhsa_enable_private_segment 0
		.amdhsa_system_sgpr_workgroup_id_x 1
		.amdhsa_system_sgpr_workgroup_id_y 0
		.amdhsa_system_sgpr_workgroup_id_z 0
		.amdhsa_system_sgpr_workgroup_info 0
		.amdhsa_system_vgpr_workitem_id 0
		.amdhsa_next_free_vgpr 48
		.amdhsa_next_free_sgpr 32
		.amdhsa_reserve_vcc 1
		.amdhsa_float_round_mode_32 0
		.amdhsa_float_round_mode_16_64 0
		.amdhsa_float_denorm_mode_32 3
		.amdhsa_float_denorm_mode_16_64 3
		.amdhsa_dx10_clamp 1
		.amdhsa_ieee_mode 1
		.amdhsa_fp16_overflow 0
		.amdhsa_workgroup_processor_mode 1
		.amdhsa_memory_ordered 1
		.amdhsa_forward_progress 0
		.amdhsa_shared_vgpr_count 0
		.amdhsa_exception_fp_ieee_invalid_op 0
		.amdhsa_exception_fp_denorm_src 0
		.amdhsa_exception_fp_ieee_div_zero 0
		.amdhsa_exception_fp_ieee_overflow 0
		.amdhsa_exception_fp_ieee_underflow 0
		.amdhsa_exception_fp_ieee_inexact 0
		.amdhsa_exception_int_div_zero 0
	.end_amdhsa_kernel
	.section	.text._ZL16k_set_rows_quantIi10block_q5_1Li32ETnPFvPKfPT0_EXadL_ZL23quantize_f32_q5_1_blockS2_PS0_EEEvS2_PKT_S4_llllllllllllll15HIP_vector_typeIjLj3EESC_SC_SC_SC_,"axG",@progbits,_ZL16k_set_rows_quantIi10block_q5_1Li32ETnPFvPKfPT0_EXadL_ZL23quantize_f32_q5_1_blockS2_PS0_EEEvS2_PKT_S4_llllllllllllll15HIP_vector_typeIjLj3EESC_SC_SC_SC_,comdat
.Lfunc_end15:
	.size	_ZL16k_set_rows_quantIi10block_q5_1Li32ETnPFvPKfPT0_EXadL_ZL23quantize_f32_q5_1_blockS2_PS0_EEEvS2_PKT_S4_llllllllllllll15HIP_vector_typeIjLj3EESC_SC_SC_SC_, .Lfunc_end15-_ZL16k_set_rows_quantIi10block_q5_1Li32ETnPFvPKfPT0_EXadL_ZL23quantize_f32_q5_1_blockS2_PS0_EEEvS2_PKT_S4_llllllllllllll15HIP_vector_typeIjLj3EESC_SC_SC_SC_
                                        ; -- End function
	.section	.AMDGPU.csdata,"",@progbits
; Kernel info:
; codeLenInByte = 2736
; NumSgprs: 34
; NumVgprs: 48
; ScratchSize: 0
; MemoryBound: 0
; FloatMode: 240
; IeeeMode: 1
; LDSByteSize: 0 bytes/workgroup (compile time only)
; SGPRBlocks: 4
; VGPRBlocks: 5
; NumSGPRsForWavesPerEU: 34
; NumVGPRsForWavesPerEU: 48
; Occupancy: 16
; WaveLimiterHint : 1
; COMPUTE_PGM_RSRC2:SCRATCH_EN: 0
; COMPUTE_PGM_RSRC2:USER_SGPR: 15
; COMPUTE_PGM_RSRC2:TRAP_HANDLER: 0
; COMPUTE_PGM_RSRC2:TGID_X_EN: 1
; COMPUTE_PGM_RSRC2:TGID_Y_EN: 0
; COMPUTE_PGM_RSRC2:TGID_Z_EN: 0
; COMPUTE_PGM_RSRC2:TIDIG_COMP_CNT: 0
	.section	.text._ZL16k_set_rows_quantIi10block_q8_0Li32ETnPFvPKfPT0_EXadL_ZL23quantize_f32_q8_0_blockS2_PS0_EEEvS2_PKT_S4_llllllllllllll15HIP_vector_typeIjLj3EESC_SC_SC_SC_,"axG",@progbits,_ZL16k_set_rows_quantIi10block_q8_0Li32ETnPFvPKfPT0_EXadL_ZL23quantize_f32_q8_0_blockS2_PS0_EEEvS2_PKT_S4_llllllllllllll15HIP_vector_typeIjLj3EESC_SC_SC_SC_,comdat
	.globl	_ZL16k_set_rows_quantIi10block_q8_0Li32ETnPFvPKfPT0_EXadL_ZL23quantize_f32_q8_0_blockS2_PS0_EEEvS2_PKT_S4_llllllllllllll15HIP_vector_typeIjLj3EESC_SC_SC_SC_ ; -- Begin function _ZL16k_set_rows_quantIi10block_q8_0Li32ETnPFvPKfPT0_EXadL_ZL23quantize_f32_q8_0_blockS2_PS0_EEEvS2_PKT_S4_llllllllllllll15HIP_vector_typeIjLj3EESC_SC_SC_SC_
	.p2align	8
	.type	_ZL16k_set_rows_quantIi10block_q8_0Li32ETnPFvPKfPT0_EXadL_ZL23quantize_f32_q8_0_blockS2_PS0_EEEvS2_PKT_S4_llllllllllllll15HIP_vector_typeIjLj3EESC_SC_SC_SC_,@function
_ZL16k_set_rows_quantIi10block_q8_0Li32ETnPFvPKfPT0_EXadL_ZL23quantize_f32_q8_0_blockS2_PS0_EEEvS2_PKT_S4_llllllllllllll15HIP_vector_typeIjLj3EESC_SC_SC_SC_: ; @_ZL16k_set_rows_quantIi10block_q8_0Li32ETnPFvPKfPT0_EXadL_ZL23quantize_f32_q8_0_blockS2_PS0_EEEvS2_PKT_S4_llllllllllllll15HIP_vector_typeIjLj3EESC_SC_SC_SC_
; %bb.0:
	s_clause 0x1
	s_load_b32 s4, s[0:1], 0xd4
	s_load_b64 s[2:3], s[0:1], 0x18
	v_mov_b32_e32 v1, 0
	s_waitcnt lgkmcnt(0)
	s_and_b32 s4, s4, 0xffff
	s_delay_alu instid0(VALU_DEP_1) | instid1(SALU_CYCLE_1)
	v_mad_u64_u32 v[2:3], null, s4, s15, v[0:1]
	s_delay_alu instid0(VALU_DEP_1)
	v_cmp_gt_i64_e32 vcc_lo, s[2:3], v[2:3]
	s_and_saveexec_b32 s2, vcc_lo
	s_cbranch_execz .LBB16_2
; %bb.1:
	s_load_b256 s[36:43], s[0:1], 0x88
	v_lshlrev_b32_e32 v0, 5, v2
	s_clause 0x2
	s_load_b128 s[24:27], s[0:1], 0xa8
	s_load_b512 s[4:19], s[0:1], 0x40
	s_load_b64 s[28:29], s[0:1], 0xb8
	s_waitcnt lgkmcnt(0)
	v_mul_hi_u32 v2, s36, v0
	s_delay_alu instid0(VALU_DEP_1) | instskip(NEXT) | instid1(VALU_DEP_1)
	v_add_nc_u32_e32 v2, v0, v2
	v_lshrrev_b32_e32 v2, s37, v2
	s_delay_alu instid0(VALU_DEP_1) | instskip(SKIP_1) | instid1(VALU_DEP_2)
	v_mul_hi_u32 v3, v2, s39
	v_mul_lo_u32 v4, v2, s38
	v_add_nc_u32_e32 v3, v2, v3
	s_delay_alu instid0(VALU_DEP_2) | instskip(NEXT) | instid1(VALU_DEP_2)
	v_sub_nc_u32_e32 v0, v0, v4
	v_lshrrev_b32_e32 v6, s40, v3
	s_delay_alu instid0(VALU_DEP_1) | instskip(SKIP_1) | instid1(VALU_DEP_2)
	v_mul_hi_u32 v3, v6, s42
	v_mul_lo_u32 v5, v6, s41
	v_add_nc_u32_e32 v3, v6, v3
	s_delay_alu instid0(VALU_DEP_2) | instskip(SKIP_1) | instid1(VALU_DEP_3)
	v_sub_nc_u32_e32 v16, v2, v5
	v_lshlrev_b64 v[4:5], 2, v[0:1]
	v_lshrrev_b32_e32 v38, s43, v3
	s_delay_alu instid0(VALU_DEP_3) | instskip(SKIP_1) | instid1(VALU_DEP_3)
	v_mad_u64_u32 v[2:3], null, v16, s4, 0
	v_mad_u64_u32 v[8:9], null, v16, s10, 0
	v_mul_lo_u32 v7, v38, s24
	v_mul_hi_u32 v10, v38, s28
	s_clause 0x3
	s_load_b128 s[20:23], s[0:1], 0x0
	s_load_b64 s[2:3], s[0:1], 0x10
	s_load_b32 s24, s[0:1], 0xc0
	s_load_b64 s[0:1], s[0:1], 0x80
	v_mov_b32_e32 v1, v3
	s_add_u32 s4, 0, 0x87870380
	v_sub_nc_u32_e32 v39, v6, v7
	v_mad_u64_u32 v[6:7], null, v38, s8, 0
	v_add_nc_u32_e32 v15, v38, v10
	v_mad_u64_u32 v[12:13], null, v16, s5, v[1:2]
	s_delay_alu instid0(VALU_DEP_4)
	v_mul_hi_u32 v14, v39, s25
	v_mad_u64_u32 v[10:11], null, v39, s6, 0
	v_mov_b32_e32 v3, v7
	v_lshrrev_b32_e32 v7, s29, v15
	s_addc_u32 s5, 0, 31
	s_mul_i32 s6, s4, 0xffffffde
	s_add_i32 s5, s5, 0x7878768
	s_delay_alu instid0(VALU_DEP_4) | instskip(NEXT) | instid1(VALU_DEP_4)
	v_add_nc_u32_e32 v15, v39, v14
	v_mov_b32_e32 v1, v11
	v_mad_u64_u32 v[13:14], null, v38, s9, v[3:4]
	v_mov_b32_e32 v3, v12
	s_delay_alu instid0(VALU_DEP_4) | instskip(NEXT) | instid1(VALU_DEP_4)
	v_lshrrev_b32_e32 v11, s26, v15
	v_mad_u64_u32 v[14:15], null, v39, s7, v[1:2]
	s_waitcnt lgkmcnt(0)
	v_mul_lo_u32 v17, v7, s24
	v_lshlrev_b64 v[1:2], 2, v[2:3]
	v_mul_lo_u32 v15, v11, s27
	v_mov_b32_e32 v7, v13
	v_mad_u64_u32 v[12:13], null, v16, s11, v[9:10]
	v_mov_b32_e32 v11, v14
	s_mul_hi_u32 s7, s4, 0xffffffde
	v_sub_nc_u32_e32 v13, v38, v17
	v_lshlrev_b64 v[6:7], 2, v[6:7]
	v_sub_nc_u32_e32 v3, v39, v15
	v_lshlrev_b64 v[9:10], 2, v[10:11]
	v_add_co_u32 v11, vcc_lo, s20, v1
	v_add_co_ci_u32_e32 v2, vcc_lo, s21, v2, vcc_lo
	s_delay_alu instid0(VALU_DEP_4) | instskip(NEXT) | instid1(VALU_DEP_3)
	v_mad_u64_u32 v[21:22], null, v3, s12, 0
	v_add_co_u32 v9, vcc_lo, v11, v9
	s_delay_alu instid0(VALU_DEP_3) | instskip(SKIP_1) | instid1(VALU_DEP_4)
	v_add_co_ci_u32_e32 v10, vcc_lo, v2, v10, vcc_lo
	v_mad_u64_u32 v[19:20], null, v13, s14, 0
	v_mov_b32_e32 v2, v22
	s_delay_alu instid0(VALU_DEP_4) | instskip(NEXT) | instid1(VALU_DEP_4)
	v_add_co_u32 v9, vcc_lo, v9, v6
	v_add_co_ci_u32_e32 v10, vcc_lo, v10, v7, vcc_lo
	s_delay_alu instid0(VALU_DEP_3) | instskip(NEXT) | instid1(VALU_DEP_3)
	v_mad_u64_u32 v[6:7], null, v3, s13, v[2:3]
	v_add_co_u32 v2, vcc_lo, v9, v4
	v_mov_b32_e32 v1, v20
	s_delay_alu instid0(VALU_DEP_4) | instskip(NEXT) | instid1(VALU_DEP_4)
	v_add_co_ci_u32_e32 v3, vcc_lo, v10, v5, vcc_lo
	v_dual_mov_b32 v9, v12 :: v_dual_mov_b32 v22, v6
	s_delay_alu instid0(VALU_DEP_3)
	v_mad_u64_u32 v[4:5], null, v13, s15, v[1:2]
	s_clause 0x1
	global_load_b128 v[11:14], v[2:3], off
	global_load_b128 v[15:18], v[2:3], off offset:16
	v_lshlrev_b64 v[5:6], 2, v[8:9]
	v_lshlrev_b64 v[7:8], 2, v[21:22]
	s_mul_i32 s9, s5, 0xffffffde
	s_mul_hi_u32 s8, s5, s6
	v_mov_b32_e32 v20, v4
	s_delay_alu instid0(VALU_DEP_3) | instskip(SKIP_1) | instid1(VALU_DEP_3)
	v_add_co_u32 v1, vcc_lo, s22, v5
	v_add_co_ci_u32_e32 v6, vcc_lo, s23, v6, vcc_lo
	v_lshlrev_b64 v[4:5], 2, v[19:20]
	s_delay_alu instid0(VALU_DEP_3) | instskip(SKIP_3) | instid1(VALU_DEP_2)
	v_add_co_u32 v1, vcc_lo, v1, v7
	global_load_b128 v[19:22], v[2:3], off offset:32
	v_add_co_ci_u32_e32 v6, vcc_lo, v6, v8, vcc_lo
	v_add_co_u32 v4, vcc_lo, v1, v4
	v_add_co_ci_u32_e32 v5, vcc_lo, v6, v5, vcc_lo
	global_load_b32 v35, v[4:5], off
	s_clause 0x4
	global_load_b128 v[23:26], v[2:3], off offset:48
	global_load_b128 v[27:30], v[2:3], off offset:64
	global_load_b128 v[31:34], v[2:3], off offset:80
	global_load_b128 v[5:8], v[2:3], off offset:96
	global_load_b128 v[1:4], v[2:3], off offset:112
	s_waitcnt vmcnt(8)
	v_max3_f32 v9, |v11|, 0, |v12|
	s_delay_alu instid0(VALU_DEP_1) | instskip(SKIP_1) | instid1(VALU_DEP_1)
	v_max3_f32 v9, v9, |v13|, |v14|
	s_waitcnt vmcnt(7)
	v_max3_f32 v9, v9, |v15|, |v16|
	s_delay_alu instid0(VALU_DEP_1) | instskip(SKIP_1) | instid1(VALU_DEP_1)
	v_max3_f32 v9, v9, |v17|, |v18|
	s_waitcnt vmcnt(6)
	v_max3_f32 v9, v9, |v19|, |v20|
	s_waitcnt vmcnt(5)
	v_ashrrev_i32_e32 v37, 31, v35
	v_mul_lo_u32 v40, v35, s17
	s_delay_alu instid0(VALU_DEP_3) | instskip(SKIP_2) | instid1(VALU_DEP_2)
	v_max3_f32 v36, v9, |v21|, |v22|
	v_mad_u64_u32 v[9:10], null, v35, s16, 0
	s_waitcnt vmcnt(4)
	v_max3_f32 v35, v36, |v23|, |v24|
	v_mul_lo_u32 v36, v37, s16
	s_delay_alu instid0(VALU_DEP_2) | instskip(NEXT) | instid1(VALU_DEP_2)
	v_max3_f32 v35, v35, |v25|, |v26|
	v_add3_u32 v10, v10, v40, v36
	s_waitcnt vmcnt(3)
	s_delay_alu instid0(VALU_DEP_2) | instskip(NEXT) | instid1(VALU_DEP_2)
	v_max3_f32 v37, v35, |v27|, |v28|
	v_mad_u64_u32 v[35:36], null, v38, s0, v[9:10]
	s_delay_alu instid0(VALU_DEP_2)
	v_max3_f32 v9, v37, |v29|, |v30|
	s_sub_i32 s0, s7, s4
	s_mul_hi_u32 s7, s4, s6
	s_add_i32 s0, s0, s9
	s_mul_i32 s6, s5, s6
	s_waitcnt vmcnt(2)
	v_max3_f32 v10, v9, |v31|, |v32|
	v_mov_b32_e32 v9, v36
	s_mul_hi_u32 s9, s4, s0
	s_mul_hi_u32 s10, s5, s0
	s_delay_alu instid0(VALU_DEP_2) | instskip(NEXT) | instid1(VALU_DEP_1)
	v_max3_f32 v10, v10, |v33|, |v34|
	v_mad_u64_u32 v[36:37], null, v38, s1, v[9:10]
	s_waitcnt vmcnt(1)
	v_max3_f32 v9, v10, |v5|, |v6|
	s_mul_i32 s1, s4, s0
	s_mul_i32 s0, s5, s0
	s_add_u32 s1, s7, s1
	s_addc_u32 s7, 0, s9
	v_max3_f32 v37, v9, |v7|, |v8|
	v_mad_u64_u32 v[9:10], null, v39, s18, v[35:36]
	s_add_u32 s1, s1, s6
	s_addc_u32 s1, s7, s8
	s_waitcnt vmcnt(0)
	v_max3_f32 v35, v37, |v1|, |v2|
	s_addc_u32 s6, s10, 0
	s_add_u32 s0, s1, s0
	s_addc_u32 s1, 0, s6
	v_add_co_u32 v40, s0, s4, s0
	v_max3_f32 v41, v35, |v3|, |v4|
	s_cmp_lg_u32 s0, 0
	v_mad_u64_u32 v[35:36], null, v39, s19, v[10:11]
	s_addc_u32 s1, s5, s1
	s_delay_alu instid0(VALU_DEP_2) | instskip(SKIP_2) | instid1(VALU_DEP_3)
	v_div_scale_f32 v42, null, 0x42fe0000, 0x42fe0000, v41
	v_mad_u64_u32 v[36:37], null, v9, s1, 0
	v_mul_hi_u32 v10, v9, v40
	v_rcp_f32_e32 v43, v42
	s_delay_alu instid0(VALU_DEP_4) | instskip(SKIP_1) | instid1(VALU_DEP_3)
	v_mad_u64_u32 v[38:39], null, v35, v40, 0
	v_div_scale_f32 v44, s0, v41, 0x42fe0000, v41
	v_add_co_u32 v10, vcc_lo, v10, v36
	v_add_co_ci_u32_e32 v40, vcc_lo, 0, v37, vcc_lo
	s_waitcnt_depctr 0xfff
	v_fma_f32 v45, -v42, v43, 1.0
	v_mad_u64_u32 v[36:37], null, v35, s1, 0
	v_add_co_u32 v10, vcc_lo, v10, v38
	s_delay_alu instid0(VALU_DEP_3) | instskip(SKIP_1) | instid1(VALU_DEP_4)
	v_fmac_f32_e32 v43, v45, v43
	v_add_co_ci_u32_e32 v10, vcc_lo, v40, v39, vcc_lo
	v_add_co_ci_u32_e32 v37, vcc_lo, 0, v37, vcc_lo
	s_delay_alu instid0(VALU_DEP_3) | instskip(NEXT) | instid1(VALU_DEP_3)
	v_mul_f32_e32 v40, v44, v43
	v_add_co_u32 v39, vcc_lo, v10, v36
	s_delay_alu instid0(VALU_DEP_3) | instskip(NEXT) | instid1(VALU_DEP_3)
	v_add_co_ci_u32_e32 v45, vcc_lo, 0, v37, vcc_lo
	v_fma_f32 v10, -v42, v40, v44
	s_delay_alu instid0(VALU_DEP_3) | instskip(SKIP_1) | instid1(VALU_DEP_2)
	v_mad_u64_u32 v[36:37], null, v39, 34, 0
	s_mov_b32 vcc_lo, s0
	v_fmac_f32_e32 v40, v10, v43
	s_delay_alu instid0(VALU_DEP_2) | instskip(NEXT) | instid1(VALU_DEP_2)
	v_mov_b32_e32 v10, v37
	v_fma_f32 v42, -v42, v40, v44
	s_delay_alu instid0(VALU_DEP_2) | instskip(NEXT) | instid1(VALU_DEP_2)
	v_mad_u64_u32 v[37:38], null, v45, 34, v[10:11]
	v_div_fmas_f32 v10, v42, v43, v40
	v_add_co_u32 v38, vcc_lo, v39, 2
	v_add_co_ci_u32_e32 v40, vcc_lo, 0, v45, vcc_lo
	v_sub_co_u32 v9, vcc_lo, v9, v36
	v_sub_co_ci_u32_e32 v35, vcc_lo, v35, v37, vcc_lo
	v_div_fixup_f32 v10, v10, 0x42fe0000, v41
	s_delay_alu instid0(VALU_DEP_3) | instskip(NEXT) | instid1(VALU_DEP_3)
	v_sub_co_u32 v36, vcc_lo, v9, 34
	v_subrev_co_ci_u32_e32 v41, vcc_lo, 0, v35, vcc_lo
	s_delay_alu instid0(VALU_DEP_3) | instskip(NEXT) | instid1(VALU_DEP_3)
	v_div_scale_f32 v37, null, v10, v10, 1.0
	v_cmp_lt_u32_e32 vcc_lo, 33, v36
	v_div_scale_f32 v44, s0, 1.0, v10, 1.0
	s_delay_alu instid0(VALU_DEP_3) | instskip(SKIP_4) | instid1(VALU_DEP_4)
	v_rcp_f32_e32 v42, v37
	v_cndmask_b32_e64 v36, 0, -1, vcc_lo
	v_cmp_lt_u32_e32 vcc_lo, 33, v9
	v_cndmask_b32_e64 v9, 0, -1, vcc_lo
	v_cmp_eq_u32_e32 vcc_lo, 0, v41
	v_cndmask_b32_e32 v36, -1, v36, vcc_lo
	v_add_co_u32 v41, vcc_lo, v39, 1
	v_add_co_ci_u32_e32 v43, vcc_lo, 0, v45, vcc_lo
	v_cmp_eq_u32_e32 vcc_lo, 0, v35
	s_delay_alu instid0(TRANS32_DEP_1) | instskip(SKIP_2) | instid1(VALU_DEP_3)
	v_fma_f32 v35, -v37, v42, 1.0
	v_cndmask_b32_e32 v9, -1, v9, vcc_lo
	v_cmp_ne_u32_e32 vcc_lo, 0, v36
	v_fmac_f32_e32 v42, v35, v42
	v_cndmask_b32_e32 v36, v43, v40, vcc_lo
	v_cndmask_b32_e32 v38, v41, v38, vcc_lo
	v_cmp_ne_u32_e32 vcc_lo, 0, v9
	s_delay_alu instid0(VALU_DEP_2) | instskip(SKIP_3) | instid1(VALU_DEP_3)
	v_cndmask_b32_e32 v9, v39, v38, vcc_lo
	v_mul_f32_e32 v38, v44, v42
	v_cndmask_b32_e32 v40, v45, v36, vcc_lo
	s_mov_b32 vcc_lo, s0
	v_mad_u64_u32 v[35:36], null, v9, 34, s[2:3]
	s_delay_alu instid0(VALU_DEP_3) | instskip(NEXT) | instid1(VALU_DEP_1)
	v_fma_f32 v9, -v37, v38, v44
	v_dual_fmac_f32 v38, v9, v42 :: v_dual_mov_b32 v9, v36
	s_delay_alu instid0(VALU_DEP_1) | instskip(NEXT) | instid1(VALU_DEP_2)
	v_fma_f32 v39, -v37, v38, v44
	v_mad_u64_u32 v[36:37], null, v40, 34, v[9:10]
	v_lshrrev_b32_e32 v37, 5, v0
	v_cvt_f16_f32_e32 v0, v10
	s_delay_alu instid0(VALU_DEP_4) | instskip(SKIP_1) | instid1(VALU_DEP_2)
	v_div_fmas_f32 v9, v39, v42, v38
	v_cmp_neq_f32_e32 vcc_lo, 0, v10
	v_div_fixup_f32 v9, v9, v10, 1.0
	s_delay_alu instid0(VALU_DEP_1) | instskip(SKIP_1) | instid1(VALU_DEP_2)
	v_cndmask_b32_e32 v38, 0, v9, vcc_lo
	v_mad_u64_u32 v[9:10], null, v37, 34, v[35:36]
	v_mul_f32_e32 v11, v11, v38
	s_delay_alu instid0(VALU_DEP_1) | instskip(NEXT) | instid1(VALU_DEP_1)
	v_trunc_f32_e32 v35, v11
	v_dual_sub_f32 v67, v11, v35 :: v_dual_mul_f32 v12, v12, v38
	v_mul_f32_e32 v1, v1, v38
	v_mul_f32_e32 v32, v32, v38
	s_delay_alu instid0(VALU_DEP_3) | instskip(NEXT) | instid1(VALU_DEP_4)
	v_cmp_ge_f32_e64 s0, |v67|, 0.5
	v_trunc_f32_e32 v36, v12
	s_delay_alu instid0(VALU_DEP_4)
	v_trunc_f32_e32 v63, v1
	v_mul_f32_e32 v23, v23, v38
	v_mul_f32_e32 v24, v24, v38
	v_trunc_f32_e32 v56, v32
	v_dual_mul_f32 v19, v19, v38 :: v_dual_sub_f32 v68, v12, v36
	v_cndmask_b32_e64 v67, 0, 1.0, s0
	s_delay_alu instid0(VALU_DEP_4) | instskip(NEXT) | instid1(VALU_DEP_4)
	v_trunc_f32_e32 v48, v24
	v_dual_sub_f32 v88, v32, v56 :: v_dual_mul_f32 v15, v15, v38
	s_delay_alu instid0(VALU_DEP_4) | instskip(SKIP_1) | instid1(VALU_DEP_4)
	v_trunc_f32_e32 v43, v19
	v_mul_f32_e32 v20, v20, v38
	v_sub_f32_e32 v80, v24, v48
	v_cmp_ge_f32_e64 s0, |v68|, 0.5
	v_trunc_f32_e32 v39, v15
	v_dual_sub_f32 v75, v19, v43 :: v_dual_mul_f32 v16, v16, v38
	v_trunc_f32_e32 v44, v20
	v_mul_f32_e32 v13, v13, v38
	s_delay_alu instid0(VALU_DEP_4)
	v_sub_f32_e32 v71, v15, v39
	v_cndmask_b32_e64 v68, 0, 1.0, s0
	v_trunc_f32_e32 v40, v16
	v_sub_f32_e32 v76, v20, v44
	v_trunc_f32_e32 v37, v13
	v_mul_f32_e32 v14, v14, v38
	v_bfi_b32 v12, 0x7fffffff, v68, v12
	v_dual_mul_f32 v27, v27, v38 :: v_dual_sub_f32 v72, v16, v40
	v_bfi_b32 v11, 0x7fffffff, v67, v11
	v_mul_f32_e32 v2, v2, v38
	v_mul_f32_e32 v7, v7, v38
	v_dual_sub_f32 v69, v13, v37 :: v_dual_add_f32 v12, v36, v12
	v_trunc_f32_e32 v51, v27
	v_dual_mul_f32 v28, v28, v38 :: v_dual_add_f32 v11, v35, v11
	v_trunc_f32_e32 v64, v2
	v_mul_f32_e32 v4, v4, v38
	v_trunc_f32_e32 v61, v7
	v_mul_f32_e32 v21, v21, v38
	v_sub_f32_e32 v83, v27, v51
	v_trunc_f32_e32 v52, v28
	v_mul_f32_e32 v17, v17, v38
	v_trunc_f32_e32 v66, v4
	v_mul_f32_e32 v3, v3, v38
	v_cmp_ge_f32_e64 s0, |v69|, 0.5
	v_mul_f32_e32 v29, v29, v38
	v_mul_f32_e32 v30, v30, v38
	;; [unrolled: 1-line block ×8, first 2 shown]
	v_trunc_f32_e32 v65, v3
	v_mul_f32_e32 v25, v25, v38
	v_mul_f32_e32 v26, v26, v38
	v_sub_f32_e32 v84, v28, v52
	v_trunc_f32_e32 v41, v17
	v_mul_f32_e32 v18, v18, v38
	v_cndmask_b32_e64 v69, 0, 1.0, s0
	v_sub_f32_e32 v68, v7, v61
	v_trunc_f32_e32 v45, v21
	v_dual_sub_f32 v73, v17, v41 :: v_dual_mul_f32 v22, v22, v38
	v_trunc_f32_e32 v38, v14
	v_bfi_b32 v13, 0x7fffffff, v69, v13
	s_delay_alu instid0(VALU_DEP_4) | instskip(SKIP_2) | instid1(VALU_DEP_4)
	v_sub_f32_e32 v77, v21, v45
	v_trunc_f32_e32 v42, v18
	v_trunc_f32_e32 v46, v22
	v_dual_sub_f32 v70, v14, v38 :: v_dual_add_f32 v13, v37, v13
	v_cvt_i32_f32_e32 v11, v11
	v_cvt_i32_f32_e32 v12, v12
	s_delay_alu instid0(VALU_DEP_3) | instskip(NEXT) | instid1(VALU_DEP_4)
	v_cmp_ge_f32_e64 s0, |v70|, 0.5
	v_cvt_i32_f32_e32 v13, v13
	s_delay_alu instid0(VALU_DEP_4) | instskip(NEXT) | instid1(VALU_DEP_4)
	v_and_b32_e32 v11, 0xff, v11
	v_lshlrev_b16 v12, 8, v12
	s_delay_alu instid0(VALU_DEP_4) | instskip(SKIP_2) | instid1(VALU_DEP_4)
	v_cndmask_b32_e64 v70, 0, 1.0, s0
	v_cmp_ge_f32_e64 s0, |v71|, 0.5
	v_and_b32_e32 v13, 0xff, v13
	v_or_b32_e32 v11, v11, v12
	s_delay_alu instid0(VALU_DEP_4) | instskip(NEXT) | instid1(VALU_DEP_4)
	v_bfi_b32 v14, 0x7fffffff, v70, v14
	v_cndmask_b32_e64 v71, 0, 1.0, s0
	v_cmp_ge_f32_e64 s0, |v72|, 0.5
	v_sub_f32_e32 v70, v1, v63
	v_trunc_f32_e32 v47, v23
	v_and_b32_e32 v11, 0xffff, v11
	v_bfi_b32 v15, 0x7fffffff, v71, v15
	v_sub_f32_e32 v74, v18, v42
	v_cndmask_b32_e64 v72, 0, 1.0, s0
	v_cmp_ge_f32_e64 s0, |v73|, 0.5
	v_sub_f32_e32 v79, v23, v47
	v_add_f32_e32 v15, v39, v15
	v_sub_f32_e32 v71, v2, v64
	v_bfi_b32 v16, 0x7fffffff, v72, v16
	v_cndmask_b32_e64 v73, 0, 1.0, s0
	v_cmp_ge_f32_e64 s0, |v74|, 0.5
	v_sub_f32_e32 v72, v3, v65
	v_trunc_f32_e32 v49, v25
	v_add_f32_e32 v16, v40, v16
	v_bfi_b32 v17, 0x7fffffff, v73, v17
	v_cndmask_b32_e64 v74, 0, 1.0, s0
	v_cmp_ge_f32_e64 s0, |v75|, 0.5
	v_dual_sub_f32 v78, v22, v46 :: v_dual_sub_f32 v81, v25, v49
	s_delay_alu instid0(VALU_DEP_4) | instskip(SKIP_1) | instid1(VALU_DEP_4)
	v_add_f32_e32 v17, v41, v17
	v_trunc_f32_e32 v50, v26
	v_cndmask_b32_e64 v75, 0, 1.0, s0
	v_cmp_ge_f32_e64 s0, |v76|, 0.5
	v_trunc_f32_e32 v53, v29
	v_bfi_b32 v18, 0x7fffffff, v74, v18
	v_cvt_i32_f32_e32 v15, v15
	v_bfi_b32 v19, 0x7fffffff, v75, v19
	v_cndmask_b32_e64 v76, 0, 1.0, s0
	v_cmp_ge_f32_e64 s0, |v77|, 0.5
	v_dual_sub_f32 v82, v26, v50 :: v_dual_sub_f32 v85, v29, v53
	s_delay_alu instid0(VALU_DEP_4) | instskip(SKIP_1) | instid1(VALU_DEP_4)
	v_add_f32_e32 v19, v43, v19
	v_trunc_f32_e32 v54, v30
	v_cndmask_b32_e64 v77, 0, 1.0, s0
	v_cmp_ge_f32_e64 s0, |v78|, 0.5
	v_bfi_b32 v20, 0x7fffffff, v76, v20
	v_cvt_i32_f32_e32 v19, v19
	v_cvt_i32_f32_e32 v16, v16
	v_bfi_b32 v21, 0x7fffffff, v77, v21
	v_cndmask_b32_e64 v78, 0, 1.0, s0
	v_cmp_ge_f32_e64 s0, |v79|, 0.5
	v_sub_f32_e32 v86, v30, v54
	s_delay_alu instid0(VALU_DEP_4) | instskip(SKIP_1) | instid1(VALU_DEP_4)
	v_dual_add_f32 v20, v44, v20 :: v_dual_add_f32 v21, v45, v21
	v_trunc_f32_e32 v55, v31
	v_cndmask_b32_e64 v79, 0, 1.0, s0
	v_cmp_ge_f32_e64 s0, |v80|, 0.5
	v_bfi_b32 v22, 0x7fffffff, v78, v22
	v_cvt_i32_f32_e32 v20, v20
	v_sub_f32_e32 v87, v31, v55
	v_bfi_b32 v23, 0x7fffffff, v79, v23
	v_cndmask_b32_e64 v80, 0, 1.0, s0
	v_cmp_ge_f32_e64 s0, |v81|, 0.5
	v_cvt_i32_f32_e32 v21, v21
	v_cvt_i32_f32_e32 v17, v17
	v_add_f32_e32 v23, v47, v23
	v_bfi_b32 v24, 0x7fffffff, v80, v24
	v_cndmask_b32_e64 v81, 0, 1.0, s0
	v_cmp_ge_f32_e64 s0, |v82|, 0.5
	v_lshlrev_b16 v20, 8, v20
	v_cvt_i32_f32_e32 v23, v23
	v_add_f32_e32 v24, v48, v24
	v_trunc_f32_e32 v57, v33
	v_cndmask_b32_e64 v82, 0, 1.0, s0
	v_cmp_ge_f32_e64 s0, |v83|, 0.5
	v_bfi_b32 v25, 0x7fffffff, v81, v25
	s_delay_alu instid0(VALU_DEP_4) | instskip(SKIP_1) | instid1(VALU_DEP_4)
	v_dual_add_f32 v14, v38, v14 :: v_dual_sub_f32 v89, v33, v57
	v_trunc_f32_e32 v58, v34
	v_cndmask_b32_e64 v83, 0, 1.0, s0
	s_delay_alu instid0(VALU_DEP_4)
	v_add_f32_e32 v25, v49, v25
	v_cmp_ge_f32_e64 s0, |v84|, 0.5
	v_bfi_b32 v26, 0x7fffffff, v82, v26
	v_sub_f32_e32 v90, v34, v58
	v_cvt_i32_f32_e32 v24, v24
	v_cvt_i32_f32_e32 v25, v25
	v_cndmask_b32_e64 v84, 0, 1.0, s0
	v_cmp_ge_f32_e64 s0, |v85|, 0.5
	v_cvt_i32_f32_e32 v14, v14
	v_lshlrev_b16 v24, 8, v24
	v_and_b32_e32 v23, 0xff, v23
	v_bfi_b32 v28, 0x7fffffff, v84, v28
	v_cndmask_b32_e64 v85, 0, 1.0, s0
	v_cmp_ge_f32_e64 s0, |v86|, 0.5
	v_and_b32_e32 v25, 0xff, v25
	v_lshlrev_b16 v14, 8, v14
	v_add_f32_e32 v28, v52, v28
	v_trunc_f32_e32 v59, v5
	v_cndmask_b32_e64 v86, 0, 1.0, s0
	v_cmp_ge_f32_e64 s0, |v87|, 0.5
	v_or_b32_e32 v23, v23, v24
	v_bfi_b32 v29, 0x7fffffff, v85, v29
	v_sub_f32_e32 v91, v5, v59
	v_trunc_f32_e32 v60, v6
	v_cndmask_b32_e64 v87, 0, 1.0, s0
	v_cmp_ge_f32_e64 s0, |v88|, 0.5
	v_dual_add_f32 v22, v46, v22 :: v_dual_add_f32 v29, v53, v29
	s_delay_alu instid0(VALU_DEP_4) | instskip(NEXT) | instid1(VALU_DEP_4)
	v_sub_f32_e32 v67, v6, v60
	v_bfi_b32 v31, 0x7fffffff, v87, v31
	s_delay_alu instid0(VALU_DEP_4)
	v_cndmask_b32_e64 v88, 0, 1.0, s0
	v_cmp_ge_f32_e64 s0, |v89|, 0.5
	v_add_f32_e32 v26, v50, v26
	v_trunc_f32_e32 v62, v8
	v_add_f32_e32 v31, v55, v31
	v_or_b32_e32 v12, v13, v14
	v_cndmask_b32_e64 v89, 0, 1.0, s0
	v_cmp_ge_f32_e64 s0, |v90|, 0.5
	v_cvt_i32_f32_e32 v26, v26
	v_bfi_b32 v27, 0x7fffffff, v83, v27
	v_add_f32_e32 v18, v42, v18
	v_cvt_i32_f32_e32 v22, v22
	v_cndmask_b32_e64 v90, 0, 1.0, s0
	v_cmp_ge_f32_e64 s0, |v91|, 0.5
	v_add_f32_e32 v27, v51, v27
	v_lshlrev_b16 v26, 8, v26
	v_cvt_i32_f32_e32 v18, v18
	v_and_b32_e32 v19, 0xff, v19
	v_cndmask_b32_e64 v91, 0, 1.0, s0
	v_cmp_ge_f32_e64 s0, |v67|, 0.5
	v_or_b32_e32 v24, v25, v26
	v_sub_f32_e32 v69, v8, v62
	v_lshlrev_b16 v22, 8, v22
	v_and_b32_e32 v21, 0xff, v21
	v_cndmask_b32_e64 v67, 0, 1.0, s0
	v_lshlrev_b32_e32 v14, 16, v24
	v_cmp_ge_f32_e64 s0, |v68|, 0.5
	v_lshlrev_b16 v16, 8, v16
	v_and_b32_e32 v15, 0xff, v15
	v_lshlrev_b16 v18, 8, v18
	v_and_b32_e32 v17, 0xff, v17
	v_cndmask_b32_e64 v68, 0, 1.0, s0
	v_cmp_ge_f32_e64 s0, |v69|, 0.5
	v_or_b32_e32 v19, v19, v20
	v_or_b32_e32 v20, v21, v22
	v_sub_f32_e32 v73, v4, v66
	v_or_b32_e32 v15, v15, v16
	v_cndmask_b32_e64 v69, 0, 1.0, s0
	v_cmp_ge_f32_e64 s0, |v70|, 0.5
	v_or_b32_e32 v16, v17, v18
	v_lshlrev_b32_e32 v18, 16, v20
	v_bfi_b32 v32, 0x7fffffff, v88, v32
	v_bfi_b32 v8, 0x7fffffff, v69, v8
	v_cndmask_b32_e64 v70, 0, 1.0, s0
	v_cmp_ge_f32_e64 s0, |v71|, 0.5
	v_bfi_b32 v30, 0x7fffffff, v86, v30
	v_bfi_b32 v33, 0x7fffffff, v89, v33
	;; [unrolled: 1-line block ×4, first 2 shown]
	v_cndmask_b32_e64 v71, 0, 1.0, s0
	v_cmp_ge_f32_e64 s0, |v72|, 0.5
	v_bfi_b32 v6, 0x7fffffff, v67, v6
	v_add_f32_e32 v32, v56, v32
	v_bfi_b32 v7, 0x7fffffff, v68, v7
	v_bfi_b32 v2, 0x7fffffff, v71, v2
	v_cndmask_b32_e64 v72, 0, 1.0, s0
	v_cmp_ge_f32_e64 s0, |v73|, 0.5
	v_add_f32_e32 v8, v62, v8
	v_bfi_b32 v1, 0x7fffffff, v70, v1
	v_dual_add_f32 v30, v54, v30 :: v_dual_add_f32 v33, v57, v33
	s_delay_alu instid0(VALU_DEP_4) | instskip(SKIP_2) | instid1(VALU_DEP_3)
	v_cndmask_b32_e64 v73, 0, 1.0, s0
	v_dual_add_f32 v34, v58, v34 :: v_dual_add_f32 v5, v59, v5
	v_dual_add_f32 v6, v60, v6 :: v_dual_add_f32 v7, v61, v7
	v_bfi_b32 v4, 0x7fffffff, v73, v4
	v_dual_add_f32 v1, v63, v1 :: v_dual_add_f32 v2, v64, v2
	v_cvt_i32_f32_e32 v27, v27
	v_cvt_i32_f32_e32 v28, v28
	s_delay_alu instid0(VALU_DEP_4)
	v_add_f32_e32 v4, v66, v4
	v_bfi_b32 v3, 0x7fffffff, v72, v3
	v_cvt_i32_f32_e32 v29, v29
	v_cvt_i32_f32_e32 v30, v30
	;; [unrolled: 1-line block ×4, first 2 shown]
	v_dual_add_f32 v3, v65, v3 :: v_dual_lshlrev_b32 v16, 16, v16
	v_cvt_i32_f32_e32 v33, v33
	v_cvt_i32_f32_e32 v34, v34
	;; [unrolled: 1-line block ×10, first 2 shown]
	v_lshlrev_b16 v6, 8, v6
	v_and_b32_e32 v1, 0xff, v1
	v_lshlrev_b16 v2, 8, v2
	v_and_b32_e32 v3, 0xff, v3
	;; [unrolled: 2-line block ×8, first 2 shown]
	v_or_b32_e32 v1, v1, v2
	v_or_b32_e32 v2, v3, v4
	;; [unrolled: 1-line block ×8, first 2 shown]
	v_and_b32_e32 v13, 0xffff, v23
	v_and_b32_e32 v17, 0xffff, v19
	;; [unrolled: 1-line block ×3, first 2 shown]
	v_lshlrev_b32_e32 v12, 16, v12
	v_and_b32_e32 v19, 0xffff, v1
	v_lshlrev_b32_e32 v20, 16, v2
	v_and_b32_e32 v21, 0xffff, v3
	;; [unrolled: 2-line block ×4, first 2 shown]
	v_lshlrev_b32_e32 v24, 16, v8
	v_or_b32_e32 v4, v13, v14
	v_or_b32_e32 v3, v17, v18
	;; [unrolled: 1-line block ×8, first 2 shown]
	s_clause 0x2
	global_store_b16 v[9:10], v0, off
	global_store_b128 v[9:10], v[1:4], off offset:2
	global_store_b128 v[9:10], v[5:8], off offset:18
.LBB16_2:
	s_nop 0
	s_sendmsg sendmsg(MSG_DEALLOC_VGPRS)
	s_endpgm
	.section	.rodata,"a",@progbits
	.p2align	6, 0x0
	.amdhsa_kernel _ZL16k_set_rows_quantIi10block_q8_0Li32ETnPFvPKfPT0_EXadL_ZL23quantize_f32_q8_0_blockS2_PS0_EEEvS2_PKT_S4_llllllllllllll15HIP_vector_typeIjLj3EESC_SC_SC_SC_
		.amdhsa_group_segment_fixed_size 0
		.amdhsa_private_segment_fixed_size 0
		.amdhsa_kernarg_size 456
		.amdhsa_user_sgpr_count 15
		.amdhsa_user_sgpr_dispatch_ptr 0
		.amdhsa_user_sgpr_queue_ptr 0
		.amdhsa_user_sgpr_kernarg_segment_ptr 1
		.amdhsa_user_sgpr_dispatch_id 0
		.amdhsa_user_sgpr_private_segment_size 0
		.amdhsa_wavefront_size32 1
		.amdhsa_uses_dynamic_stack 0
		.amdhsa_enable_private_segment 0
		.amdhsa_system_sgpr_workgroup_id_x 1
		.amdhsa_system_sgpr_workgroup_id_y 0
		.amdhsa_system_sgpr_workgroup_id_z 0
		.amdhsa_system_sgpr_workgroup_info 0
		.amdhsa_system_vgpr_workitem_id 0
		.amdhsa_next_free_vgpr 92
		.amdhsa_next_free_sgpr 44
		.amdhsa_reserve_vcc 1
		.amdhsa_float_round_mode_32 0
		.amdhsa_float_round_mode_16_64 0
		.amdhsa_float_denorm_mode_32 3
		.amdhsa_float_denorm_mode_16_64 3
		.amdhsa_dx10_clamp 1
		.amdhsa_ieee_mode 1
		.amdhsa_fp16_overflow 0
		.amdhsa_workgroup_processor_mode 1
		.amdhsa_memory_ordered 1
		.amdhsa_forward_progress 0
		.amdhsa_shared_vgpr_count 0
		.amdhsa_exception_fp_ieee_invalid_op 0
		.amdhsa_exception_fp_denorm_src 0
		.amdhsa_exception_fp_ieee_div_zero 0
		.amdhsa_exception_fp_ieee_overflow 0
		.amdhsa_exception_fp_ieee_underflow 0
		.amdhsa_exception_fp_ieee_inexact 0
		.amdhsa_exception_int_div_zero 0
	.end_amdhsa_kernel
	.section	.text._ZL16k_set_rows_quantIi10block_q8_0Li32ETnPFvPKfPT0_EXadL_ZL23quantize_f32_q8_0_blockS2_PS0_EEEvS2_PKT_S4_llllllllllllll15HIP_vector_typeIjLj3EESC_SC_SC_SC_,"axG",@progbits,_ZL16k_set_rows_quantIi10block_q8_0Li32ETnPFvPKfPT0_EXadL_ZL23quantize_f32_q8_0_blockS2_PS0_EEEvS2_PKT_S4_llllllllllllll15HIP_vector_typeIjLj3EESC_SC_SC_SC_,comdat
.Lfunc_end16:
	.size	_ZL16k_set_rows_quantIi10block_q8_0Li32ETnPFvPKfPT0_EXadL_ZL23quantize_f32_q8_0_blockS2_PS0_EEEvS2_PKT_S4_llllllllllllll15HIP_vector_typeIjLj3EESC_SC_SC_SC_, .Lfunc_end16-_ZL16k_set_rows_quantIi10block_q8_0Li32ETnPFvPKfPT0_EXadL_ZL23quantize_f32_q8_0_blockS2_PS0_EEEvS2_PKT_S4_llllllllllllll15HIP_vector_typeIjLj3EESC_SC_SC_SC_
                                        ; -- End function
	.section	.AMDGPU.csdata,"",@progbits
; Kernel info:
; codeLenInByte = 3692
; NumSgprs: 46
; NumVgprs: 92
; ScratchSize: 0
; MemoryBound: 0
; FloatMode: 240
; IeeeMode: 1
; LDSByteSize: 0 bytes/workgroup (compile time only)
; SGPRBlocks: 5
; VGPRBlocks: 11
; NumSGPRsForWavesPerEU: 46
; NumVGPRsForWavesPerEU: 92
; Occupancy: 16
; WaveLimiterHint : 1
; COMPUTE_PGM_RSRC2:SCRATCH_EN: 0
; COMPUTE_PGM_RSRC2:USER_SGPR: 15
; COMPUTE_PGM_RSRC2:TRAP_HANDLER: 0
; COMPUTE_PGM_RSRC2:TGID_X_EN: 1
; COMPUTE_PGM_RSRC2:TGID_Y_EN: 0
; COMPUTE_PGM_RSRC2:TGID_Z_EN: 0
; COMPUTE_PGM_RSRC2:TIDIG_COMP_CNT: 0
	.section	.text._ZL16k_set_rows_quantIi12block_iq4_nlLi32ETnPFvPKfPT0_EXadL_ZL25quantize_f32_iq4_nl_blockS2_PS0_EEEvS2_PKT_S4_llllllllllllll15HIP_vector_typeIjLj3EESC_SC_SC_SC_,"axG",@progbits,_ZL16k_set_rows_quantIi12block_iq4_nlLi32ETnPFvPKfPT0_EXadL_ZL25quantize_f32_iq4_nl_blockS2_PS0_EEEvS2_PKT_S4_llllllllllllll15HIP_vector_typeIjLj3EESC_SC_SC_SC_,comdat
	.globl	_ZL16k_set_rows_quantIi12block_iq4_nlLi32ETnPFvPKfPT0_EXadL_ZL25quantize_f32_iq4_nl_blockS2_PS0_EEEvS2_PKT_S4_llllllllllllll15HIP_vector_typeIjLj3EESC_SC_SC_SC_ ; -- Begin function _ZL16k_set_rows_quantIi12block_iq4_nlLi32ETnPFvPKfPT0_EXadL_ZL25quantize_f32_iq4_nl_blockS2_PS0_EEEvS2_PKT_S4_llllllllllllll15HIP_vector_typeIjLj3EESC_SC_SC_SC_
	.p2align	8
	.type	_ZL16k_set_rows_quantIi12block_iq4_nlLi32ETnPFvPKfPT0_EXadL_ZL25quantize_f32_iq4_nl_blockS2_PS0_EEEvS2_PKT_S4_llllllllllllll15HIP_vector_typeIjLj3EESC_SC_SC_SC_,@function
_ZL16k_set_rows_quantIi12block_iq4_nlLi32ETnPFvPKfPT0_EXadL_ZL25quantize_f32_iq4_nl_blockS2_PS0_EEEvS2_PKT_S4_llllllllllllll15HIP_vector_typeIjLj3EESC_SC_SC_SC_: ; @_ZL16k_set_rows_quantIi12block_iq4_nlLi32ETnPFvPKfPT0_EXadL_ZL25quantize_f32_iq4_nl_blockS2_PS0_EEEvS2_PKT_S4_llllllllllllll15HIP_vector_typeIjLj3EESC_SC_SC_SC_
; %bb.0:
	s_clause 0x1
	s_load_b32 s4, s[0:1], 0xd4
	s_load_b64 s[2:3], s[0:1], 0x18
	v_mov_b32_e32 v1, 0
	s_waitcnt lgkmcnt(0)
	s_and_b32 s4, s4, 0xffff
	s_delay_alu instid0(VALU_DEP_1) | instid1(SALU_CYCLE_1)
	v_mad_u64_u32 v[2:3], null, s4, s15, v[0:1]
	s_delay_alu instid0(VALU_DEP_1)
	v_cmp_gt_i64_e32 vcc_lo, s[2:3], v[2:3]
	s_and_saveexec_b32 s2, vcc_lo
	s_cbranch_execz .LBB17_16
; %bb.1:
	s_load_b256 s[20:27], s[0:1], 0x88
	v_lshlrev_b32_e32 v13, 5, v2
	s_clause 0x2
	s_load_b128 s[28:31], s[0:1], 0xa8
	s_load_b512 s[4:19], s[0:1], 0x40
	s_load_b64 s[2:3], s[0:1], 0x10
	s_waitcnt lgkmcnt(0)
	v_mul_hi_u32 v0, s20, v13
	s_delay_alu instid0(VALU_DEP_1) | instskip(NEXT) | instid1(VALU_DEP_1)
	v_add_nc_u32_e32 v0, v13, v0
	v_lshrrev_b32_e32 v12, s21, v0
	s_delay_alu instid0(VALU_DEP_1) | instskip(NEXT) | instid1(VALU_DEP_1)
	v_mul_hi_u32 v0, v12, s23
	v_add_nc_u32_e32 v0, v12, v0
	s_delay_alu instid0(VALU_DEP_1) | instskip(NEXT) | instid1(VALU_DEP_1)
	v_lshrrev_b32_e32 v0, s24, v0
	v_mul_hi_u32 v2, v0, s26
	s_delay_alu instid0(VALU_DEP_1) | instskip(NEXT) | instid1(VALU_DEP_1)
	v_add_nc_u32_e32 v2, v0, v2
	v_lshrrev_b32_e32 v37, s27, v2
	v_mul_lo_u32 v2, v0, s25
	s_load_b128 s[24:27], s[0:1], 0x0
	s_delay_alu instid0(VALU_DEP_2) | instskip(SKIP_1) | instid1(VALU_DEP_3)
	v_mul_lo_u32 v3, v37, s28
	v_mad_u64_u32 v[7:8], null, v37, s8, 0
	v_sub_nc_u32_e32 v28, v12, v2
	s_delay_alu instid0(VALU_DEP_3) | instskip(NEXT) | instid1(VALU_DEP_2)
	v_sub_nc_u32_e32 v4, v0, v3
	v_mad_u64_u32 v[2:3], null, v28, s4, 0
	v_mad_u64_u32 v[29:30], null, v28, s10, 0
	s_delay_alu instid0(VALU_DEP_3) | instskip(SKIP_2) | instid1(VALU_DEP_2)
	v_mad_u64_u32 v[5:6], null, v4, s6, 0
	v_mul_hi_u32 v21, v4, s29
	s_load_b32 s6, s[0:1], 0xc0
	v_dual_mov_b32 v0, v3 :: v_dual_mov_b32 v3, v6
	s_delay_alu instid0(VALU_DEP_1)
	v_mad_u64_u32 v[9:10], null, v28, s5, v[0:1]
	s_clause 0x1
	s_load_b64 s[4:5], s[0:1], 0xb8
	s_load_b64 s[0:1], s[0:1], 0x80
	v_mad_u64_u32 v[10:11], null, v4, s7, v[3:4]
	v_add_nc_u32_e32 v21, v4, v21
	s_delay_alu instid0(VALU_DEP_3) | instskip(NEXT) | instid1(VALU_DEP_2)
	v_mov_b32_e32 v3, v9
	v_lshrrev_b32_e32 v26, s30, v21
	s_delay_alu instid0(VALU_DEP_4) | instskip(NEXT) | instid1(VALU_DEP_3)
	v_mov_b32_e32 v6, v10
	v_lshlrev_b64 v[2:3], 2, v[2:3]
	s_delay_alu instid0(VALU_DEP_3) | instskip(NEXT) | instid1(VALU_DEP_3)
	v_mul_lo_u32 v26, v26, s31
	v_lshlrev_b64 v[5:6], 2, v[5:6]
	s_waitcnt lgkmcnt(0)
	s_delay_alu instid0(VALU_DEP_3) | instskip(NEXT) | instid1(VALU_DEP_4)
	v_add_co_u32 v9, vcc_lo, s24, v2
	v_add_co_ci_u32_e32 v10, vcc_lo, s25, v3, vcc_lo
	v_mul_hi_u32 v22, v37, s4
	v_mov_b32_e32 v0, v8
	v_mul_lo_u32 v8, v12, s22
	s_add_u32 s4, 0, 0x38e27e00
	v_sub_nc_u32_e32 v36, v4, v26
	s_mul_hi_u32 s7, s4, 0xffffffee
	s_delay_alu instid0(VALU_DEP_4) | instskip(SKIP_1) | instid1(VALU_DEP_4)
	v_add_nc_u32_e32 v25, v37, v22
	v_mad_u64_u32 v[11:12], null, v37, s9, v[0:1]
	v_sub_nc_u32_e32 v0, v13, v8
	v_mad_u64_u32 v[31:32], null, v36, s12, 0
	s_delay_alu instid0(VALU_DEP_4) | instskip(SKIP_1) | instid1(VALU_DEP_4)
	v_lshrrev_b32_e32 v25, s5, v25
	s_addc_u32 s5, 0, 62
	v_mov_b32_e32 v8, v11
	s_delay_alu instid0(VALU_DEP_2) | instskip(SKIP_1) | instid1(VALU_DEP_1)
	v_mul_lo_u32 v25, v25, s6
	s_mul_i32 s6, s4, 0xffffffee
	v_sub_nc_u32_e32 v38, v37, v25
	v_mov_b32_e32 v25, v30
	s_delay_alu instid0(VALU_DEP_2) | instskip(NEXT) | instid1(VALU_DEP_2)
	v_mad_u64_u32 v[33:34], null, v38, s14, 0
	v_mad_u64_u32 v[26:27], null, v28, s11, v[25:26]
	v_mov_b32_e32 v25, v32
	v_lshlrev_b64 v[2:3], 2, v[7:8]
	v_add_co_u32 v7, vcc_lo, v9, v5
	v_add_co_ci_u32_e32 v8, vcc_lo, v10, v6, vcc_lo
	v_lshlrev_b64 v[5:6], 2, v[0:1]
	s_delay_alu instid0(VALU_DEP_3) | instskip(NEXT) | instid1(VALU_DEP_3)
	v_add_co_u32 v2, vcc_lo, v7, v2
	v_add_co_ci_u32_e32 v3, vcc_lo, v8, v3, vcc_lo
	v_mov_b32_e32 v27, v34
	s_delay_alu instid0(VALU_DEP_3) | instskip(NEXT) | instid1(VALU_DEP_3)
	v_add_co_u32 v2, vcc_lo, v2, v5
	v_add_co_ci_u32_e32 v3, vcc_lo, v3, v6, vcc_lo
	s_clause 0x4
	global_load_b128 v[5:8], v[2:3], off
	global_load_b128 v[9:12], v[2:3], off offset:16
	global_load_b128 v[13:16], v[2:3], off offset:32
	;; [unrolled: 1-line block ×4, first 2 shown]
	v_mad_u64_u32 v[34:35], null, v36, s13, v[25:26]
	v_mov_b32_e32 v30, v26
	v_mad_u64_u32 v[35:36], null, v38, s15, v[27:28]
	global_load_b128 v[25:28], v[2:3], off offset:80
	v_lshrrev_b32_e32 v0, 5, v0
	v_lshlrev_b64 v[29:30], 2, v[29:30]
	v_mov_b32_e32 v32, v34
	v_mov_b32_e32 v34, v35
	s_delay_alu instid0(VALU_DEP_2) | instskip(NEXT) | instid1(VALU_DEP_4)
	v_lshlrev_b64 v[31:32], 2, v[31:32]
	v_add_co_u32 v35, vcc_lo, s26, v29
	v_add_co_ci_u32_e32 v36, vcc_lo, s27, v30, vcc_lo
	s_delay_alu instid0(VALU_DEP_4) | instskip(NEXT) | instid1(VALU_DEP_3)
	v_lshlrev_b64 v[29:30], 2, v[33:34]
	v_add_co_u32 v31, vcc_lo, v35, v31
	s_delay_alu instid0(VALU_DEP_3) | instskip(NEXT) | instid1(VALU_DEP_2)
	v_add_co_ci_u32_e32 v32, vcc_lo, v36, v32, vcc_lo
	v_add_co_u32 v29, vcc_lo, v31, v29
	s_delay_alu instid0(VALU_DEP_2)
	v_add_co_ci_u32_e32 v30, vcc_lo, v32, v30, vcc_lo
	global_load_b32 v38, v[29:30], off
	s_clause 0x1
	global_load_b128 v[29:32], v[2:3], off offset:96
	global_load_b128 v[33:36], v[2:3], off offset:112
	s_waitcnt vmcnt(8)
	v_cmp_lg_f32_e32 vcc_lo, 0, v5
	v_cndmask_b32_e32 v39, 0, v5, vcc_lo
	v_cndmask_b32_e64 v5, 0, |v5|, vcc_lo
	s_delay_alu instid0(VALU_DEP_1) | instskip(NEXT) | instid1(VALU_DEP_3)
	v_cmp_lt_f32_e64 vcc_lo, v5, |v6|
	v_cndmask_b32_e32 v39, v39, v6, vcc_lo
	s_delay_alu instid0(VALU_DEP_2) | instskip(NEXT) | instid1(VALU_DEP_1)
	v_cndmask_b32_e64 v5, v5, |v6|, vcc_lo
	v_cmp_lt_f32_e64 vcc_lo, v5, |v7|
	s_delay_alu instid0(VALU_DEP_1) | instskip(NEXT) | instid1(VALU_DEP_4)
	v_cndmask_b32_e64 v5, v5, |v7|, vcc_lo
	v_cndmask_b32_e32 v6, v39, v7, vcc_lo
	s_delay_alu instid0(VALU_DEP_2) | instskip(SKIP_2) | instid1(VALU_DEP_2)
	v_cmp_lt_f32_e64 vcc_lo, v5, |v8|
	s_waitcnt vmcnt(2)
	v_ashrrev_i32_e32 v7, 31, v38
	v_cndmask_b32_e64 v5, v5, |v8|, vcc_lo
	v_cndmask_b32_e32 v6, v6, v8, vcc_lo
	s_delay_alu instid0(VALU_DEP_3) | instskip(NEXT) | instid1(VALU_DEP_3)
	v_mul_lo_u32 v7, v7, s16
	v_cmp_lt_f32_e64 vcc_lo, v5, |v9|
	s_delay_alu instid0(VALU_DEP_1) | instskip(NEXT) | instid1(VALU_DEP_4)
	v_cndmask_b32_e64 v5, v5, |v9|, vcc_lo
	v_cndmask_b32_e32 v6, v6, v9, vcc_lo
	s_delay_alu instid0(VALU_DEP_2) | instskip(NEXT) | instid1(VALU_DEP_1)
	v_cmp_lt_f32_e64 vcc_lo, v5, |v10|
	v_cndmask_b32_e64 v5, v5, |v10|, vcc_lo
	s_delay_alu instid0(VALU_DEP_3) | instskip(SKIP_1) | instid1(VALU_DEP_3)
	v_cndmask_b32_e32 v6, v6, v10, vcc_lo
	v_mul_lo_u32 v10, v38, s17
	v_cmp_lt_f32_e64 vcc_lo, v5, |v11|
	s_delay_alu instid0(VALU_DEP_1) | instskip(NEXT) | instid1(VALU_DEP_4)
	v_cndmask_b32_e64 v5, v5, |v11|, vcc_lo
	v_cndmask_b32_e32 v6, v6, v11, vcc_lo
	s_delay_alu instid0(VALU_DEP_2) | instskip(NEXT) | instid1(VALU_DEP_1)
	v_cmp_lt_f32_e64 vcc_lo, v5, |v12|
	v_cndmask_b32_e64 v5, v5, |v12|, vcc_lo
	s_delay_alu instid0(VALU_DEP_3) | instskip(NEXT) | instid1(VALU_DEP_2)
	v_cndmask_b32_e32 v6, v6, v12, vcc_lo
	v_cmp_lt_f32_e64 vcc_lo, v5, |v13|
	s_delay_alu instid0(VALU_DEP_1) | instskip(NEXT) | instid1(VALU_DEP_3)
	v_cndmask_b32_e64 v5, v5, |v13|, vcc_lo
	v_cndmask_b32_e32 v6, v6, v13, vcc_lo
	s_delay_alu instid0(VALU_DEP_2) | instskip(NEXT) | instid1(VALU_DEP_1)
	v_cmp_lt_f32_e64 vcc_lo, v5, |v14|
	v_cndmask_b32_e64 v5, v5, |v14|, vcc_lo
	s_delay_alu instid0(VALU_DEP_3) | instskip(NEXT) | instid1(VALU_DEP_2)
	v_cndmask_b32_e32 v6, v6, v14, vcc_lo
	v_cmp_lt_f32_e64 vcc_lo, v5, |v15|
	s_delay_alu instid0(VALU_DEP_1) | instskip(NEXT) | instid1(VALU_DEP_3)
	;; [unrolled: 9-line block ×8, first 2 shown]
	v_cndmask_b32_e64 v9, v5, |v27|, vcc_lo
	v_cndmask_b32_e32 v8, v6, v27, vcc_lo
	v_mad_u64_u32 v[5:6], null, v38, s16, 0
	s_delay_alu instid0(VALU_DEP_3) | instskip(NEXT) | instid1(VALU_DEP_1)
	v_cmp_lt_f32_e64 vcc_lo, v9, |v28|
	v_cndmask_b32_e64 v9, v9, |v28|, vcc_lo
	s_delay_alu instid0(VALU_DEP_4) | instskip(NEXT) | instid1(VALU_DEP_4)
	v_cndmask_b32_e32 v11, v8, v28, vcc_lo
	v_add3_u32 v6, v6, v10, v7
	s_waitcnt vmcnt(1)
	s_delay_alu instid0(VALU_DEP_3) | instskip(NEXT) | instid1(VALU_DEP_2)
	v_cmp_lt_f32_e64 vcc_lo, v9, |v29|
	v_mad_u64_u32 v[7:8], null, v37, s0, v[5:6]
	s_add_i32 s0, s5, 0xe38e350
	s_delay_alu instid0(VALU_DEP_2)
	v_cndmask_b32_e64 v9, v9, |v29|, vcc_lo
	v_cndmask_b32_e32 v6, v11, v29, vcc_lo
	s_sub_i32 s5, s7, s4
	s_mul_i32 s8, s0, 0xffffffee
	s_mul_hi_u32 s7, s4, s6
	v_cmp_lt_f32_e64 vcc_lo, v9, |v30|
	v_mov_b32_e32 v5, v8
	s_add_i32 s5, s5, s8
	s_mul_hi_u32 s9, s0, s6
	s_mul_hi_u32 s8, s4, s5
	v_cndmask_b32_e64 v10, v9, |v30|, vcc_lo
	v_cndmask_b32_e32 v6, v6, v30, vcc_lo
	s_mul_i32 s6, s0, s6
	s_mul_hi_u32 s10, s0, s5
	s_delay_alu instid0(VALU_DEP_2) | instskip(NEXT) | instid1(VALU_DEP_2)
	v_cmp_lt_f32_e64 vcc_lo, v10, |v31|
	v_mad_u64_u32 v[8:9], null, v37, s1, v[5:6]
	s_mul_i32 s1, s4, s5
	s_mul_i32 s5, s0, s5
	s_delay_alu instid0(VALU_DEP_2) | instskip(SKIP_3) | instid1(VALU_DEP_3)
	v_cndmask_b32_e64 v10, v10, |v31|, vcc_lo
	v_cndmask_b32_e32 v9, v6, v31, vcc_lo
	s_add_u32 s1, s7, s1
	s_addc_u32 s7, 0, s8
	v_mad_u64_u32 v[5:6], null, v4, s18, v[7:8]
	v_cmp_lt_f32_e64 vcc_lo, v10, |v32|
	s_add_u32 s1, s1, s6
	s_addc_u32 s1, s7, s9
	s_addc_u32 s6, s10, 0
	s_add_u32 s1, s1, s5
	v_cndmask_b32_e64 v8, v10, |v32|, vcc_lo
	v_cndmask_b32_e32 v7, v9, v32, vcc_lo
	v_add_co_u32 v12, s1, s4, s1
	s_addc_u32 s4, 0, s6
	s_waitcnt vmcnt(0)
	v_cmp_lt_f32_e64 vcc_lo, v8, |v33|
	s_cmp_lg_u32 s1, 0
	s_addc_u32 s1, s0, s4
	v_cndmask_b32_e32 v10, v7, v33, vcc_lo
	s_delay_alu instid0(VALU_DEP_2) | instskip(SKIP_2) | instid1(VALU_DEP_3)
	v_cndmask_b32_e64 v11, v8, |v33|, vcc_lo
	v_mad_u64_u32 v[7:8], null, v4, s19, v[6:7]
	v_mad_u64_u32 v[8:9], null, v5, s1, 0
	v_cmp_lt_f32_e64 vcc_lo, v11, |v34|
	v_mul_hi_u32 v4, v5, v12
	s_delay_alu instid0(VALU_DEP_2) | instskip(SKIP_2) | instid1(VALU_DEP_4)
	v_cndmask_b32_e64 v13, v11, |v34|, vcc_lo
	v_cndmask_b32_e32 v6, v10, v34, vcc_lo
	v_mad_u64_u32 v[10:11], null, v7, v12, 0
	v_add_co_u32 v4, s0, v4, v8
	s_delay_alu instid0(VALU_DEP_4) | instskip(SKIP_2) | instid1(VALU_DEP_3)
	v_cmp_lt_f32_e64 vcc_lo, v13, |v35|
	v_add_co_ci_u32_e64 v12, s0, 0, v9, s0
	v_mad_u64_u32 v[8:9], null, v7, s1, 0
	v_cndmask_b32_e64 v13, v13, |v35|, vcc_lo
	v_cndmask_b32_e32 v6, v6, v35, vcc_lo
	v_add_co_u32 v4, vcc_lo, v4, v10
	v_add_co_ci_u32_e32 v4, vcc_lo, v12, v11, vcc_lo
	s_delay_alu instid0(VALU_DEP_4) | instskip(SKIP_1) | instid1(VALU_DEP_3)
	v_cmp_lt_f32_e64 s0, v13, |v36|
	v_add_co_ci_u32_e32 v9, vcc_lo, 0, v9, vcc_lo
	v_add_co_u32 v11, vcc_lo, v4, v8
	s_delay_alu instid0(VALU_DEP_3) | instskip(NEXT) | instid1(VALU_DEP_3)
	v_cndmask_b32_e64 v6, v6, v36, s0
	v_add_co_ci_u32_e32 v13, vcc_lo, 0, v9, vcc_lo
	s_delay_alu instid0(VALU_DEP_3) | instskip(NEXT) | instid1(VALU_DEP_3)
	v_mad_u64_u32 v[8:9], null, v11, 18, 0
	v_div_scale_f32 v12, null, 0xc2fe0000, 0xc2fe0000, v6
	s_mov_b32 s1, 0
	s_delay_alu instid0(VALU_DEP_1) | instskip(NEXT) | instid1(VALU_DEP_2)
	v_rcp_f32_e32 v14, v12
	v_mov_b32_e32 v4, v9
	s_delay_alu instid0(VALU_DEP_1) | instskip(SKIP_4) | instid1(VALU_DEP_1)
	v_mad_u64_u32 v[9:10], null, v13, 18, v[4:5]
	v_div_scale_f32 v4, vcc_lo, v6, 0xc2fe0000, v6
	s_waitcnt_depctr 0xfff
	v_fma_f32 v15, -v12, v14, 1.0
	v_sub_co_u32 v5, s0, v5, v8
	v_sub_co_ci_u32_e64 v7, s0, v7, v9, s0
	s_delay_alu instid0(VALU_DEP_3) | instskip(NEXT) | instid1(VALU_DEP_3)
	v_fmac_f32_e32 v14, v15, v14
	v_sub_co_u32 v9, s0, v5, 18
	s_delay_alu instid0(VALU_DEP_1) | instskip(NEXT) | instid1(VALU_DEP_3)
	v_subrev_co_ci_u32_e64 v15, s0, 0, v7, s0
	v_mul_f32_e32 v8, v4, v14
	s_delay_alu instid0(VALU_DEP_3) | instskip(NEXT) | instid1(VALU_DEP_2)
	v_cmp_lt_u32_e64 s0, 17, v9
	v_fma_f32 v10, -v12, v8, v4
	s_delay_alu instid0(VALU_DEP_2) | instskip(NEXT) | instid1(VALU_DEP_2)
	v_cndmask_b32_e64 v9, 0, -1, s0
	v_fmac_f32_e32 v8, v10, v14
	v_add_co_u32 v10, s0, v11, 2
	s_delay_alu instid0(VALU_DEP_1) | instskip(NEXT) | instid1(VALU_DEP_3)
	v_add_co_ci_u32_e64 v16, s0, 0, v13, s0
	v_fma_f32 v4, -v12, v8, v4
	v_cmp_eq_u32_e64 s0, 0, v15
	s_delay_alu instid0(VALU_DEP_2)
	v_div_fmas_f32 v4, v4, v14, v8
	v_add_co_u32 v8, vcc_lo, v11, 1
	v_add_co_ci_u32_e32 v12, vcc_lo, 0, v13, vcc_lo
	v_cmp_lt_u32_e32 vcc_lo, 17, v5
	v_cndmask_b32_e64 v9, -1, v9, s0
	v_div_fixup_f32 v6, v4, 0xc2fe0000, v6
	v_cmp_eq_u32_e64 s0, 0, v7
	v_cndmask_b32_e64 v4, 0, -1, vcc_lo
	s_delay_alu instid0(VALU_DEP_4) | instskip(NEXT) | instid1(VALU_DEP_4)
	v_cmp_ne_u32_e32 vcc_lo, 0, v9
	v_div_scale_f32 v5, null, v6, v6, 1.0
	s_delay_alu instid0(VALU_DEP_3) | instskip(SKIP_1) | instid1(VALU_DEP_3)
	v_cndmask_b32_e64 v4, -1, v4, s0
	v_cndmask_b32_e32 v7, v12, v16, vcc_lo
	v_rcp_f32_e32 v12, v5
	v_cndmask_b32_e32 v8, v8, v10, vcc_lo
	s_mov_b32 s0, s1
	v_cmp_ne_u32_e32 vcc_lo, 0, v4
	s_delay_alu instid0(VALU_DEP_2)
	v_cndmask_b32_e32 v4, v11, v8, vcc_lo
	v_cndmask_b32_e32 v10, v13, v7, vcc_lo
	s_waitcnt_depctr 0xfff
	v_fma_f32 v9, -v5, v12, 1.0
	v_div_scale_f32 v11, vcc_lo, 1.0, v6, 1.0
	v_mad_u64_u32 v[7:8], null, v4, 18, s[2:3]
	s_delay_alu instid0(VALU_DEP_3) | instskip(NEXT) | instid1(VALU_DEP_1)
	v_fmac_f32_e32 v12, v9, v12
	v_dual_mul_f32 v13, v11, v12 :: v_dual_mov_b32 v4, v8
	s_delay_alu instid0(VALU_DEP_1) | instskip(NEXT) | instid1(VALU_DEP_2)
	v_mad_u64_u32 v[8:9], null, v10, 18, v[4:5]
	v_fma_f32 v4, -v5, v13, v11
	s_delay_alu instid0(VALU_DEP_1) | instskip(NEXT) | instid1(VALU_DEP_1)
	v_fmac_f32_e32 v13, v4, v12
	v_fma_f32 v9, -v5, v13, v11
	s_delay_alu instid0(VALU_DEP_4) | instskip(NEXT) | instid1(VALU_DEP_2)
	v_mad_u64_u32 v[4:5], null, v0, 18, v[7:8]
	v_div_fmas_f32 v0, v9, v12, v13
	s_delay_alu instid0(VALU_DEP_2) | instskip(NEXT) | instid1(VALU_DEP_3)
	v_add_co_u32 v7, vcc_lo, v4, 2
	v_add_co_ci_u32_e32 v8, vcc_lo, 0, v5, vcc_lo
	s_delay_alu instid0(VALU_DEP_3) | instskip(SKIP_1) | instid1(VALU_DEP_2)
	v_div_fixup_f32 v0, v0, v6, 1.0
	v_cmp_neq_f32_e32 vcc_lo, 0, v6
	v_dual_cndmask_b32 v9, 0, v0 :: v_dual_mov_b32 v0, 0
	s_branch .LBB17_4
.LBB17_2:                               ;   in Loop: Header=BB17_4 Depth=1
	s_or_b32 exec_lo, exec_lo, s5
.LBB17_3:                               ;   in Loop: Header=BB17_4 Depth=1
	s_delay_alu instid0(SALU_CYCLE_1) | instskip(NEXT) | instid1(VALU_DEP_1)
	s_or_b32 exec_lo, exec_lo, s4
	v_dual_mul_f32 v17, v10, v10 :: v_dual_and_b32 v14, 0xff, v12
	v_dual_mul_f32 v16, v11, v11 :: v_dual_and_b32 v15, 0xff, v13
	s_getpc_b64 s[2:3]
	s_add_u32 s2, s2, _ZL13kvalues_iq4nl@rel32@lo+4
	s_addc_u32 s3, s3, _ZL13kvalues_iq4nl@rel32@hi+12
	s_clause 0x1
	global_load_i8 v14, v14, s[2:3]
	global_load_i8 v15, v15, s[2:3]
	v_lshl_or_b32 v12, v12, 4, v13
	s_waitcnt vmcnt(1)
	v_cvt_f32_i32_e32 v14, v14
	s_waitcnt vmcnt(0)
	v_cvt_f32_i32_e32 v15, v15
	s_delay_alu instid0(VALU_DEP_1) | instskip(NEXT) | instid1(VALU_DEP_1)
	v_dual_mul_f32 v16, v16, v14 :: v_dual_mul_f32 v17, v17, v15
	v_mul_f32_e32 v18, v11, v16
	v_mul_f32_e32 v14, v16, v14
	s_delay_alu instid0(VALU_DEP_2) | instskip(NEXT) | instid1(VALU_DEP_2)
	v_fmac_f32_e32 v18, v10, v17
	v_fmac_f32_e32 v14, v17, v15
	v_add_co_u32 v10, vcc_lo, v7, s0
	v_add_co_ci_u32_e32 v11, vcc_lo, 0, v8, vcc_lo
	s_delay_alu instid0(VALU_DEP_4) | instskip(NEXT) | instid1(VALU_DEP_4)
	v_add_f32_e32 v1, v1, v18
	v_add_f32_e32 v0, v0, v14
	s_add_i32 s0, s0, 1
	global_store_b8 v[10:11], v12, off
	s_cmp_lg_u32 s0, 16
	s_cbranch_scc0 .LBB17_15
.LBB17_4:                               ; =>This Loop Header: Depth=1
                                        ;     Child Loop BB17_7 Depth 2
                                        ;     Child Loop BB17_13 Depth 2
	s_lshl_b64 s[2:3], s[0:1], 2
	s_mov_b32 s4, exec_lo
	v_add_co_u32 v11, vcc_lo, v2, s2
	v_add_co_ci_u32_e32 v12, vcc_lo, s3, v3, vcc_lo
	s_clause 0x1
	global_load_b32 v10, v[11:12], off
	global_load_b32 v11, v[11:12], off offset:64
	v_dual_mov_b32 v12, 0 :: v_dual_mov_b32 v13, 0
	s_waitcnt vmcnt(1)
	v_mul_f32_e32 v14, v9, v10
	s_delay_alu instid0(VALU_DEP_1)
	v_cmpx_nge_f32_e32 0xc2fe0000, v14
	s_cbranch_execz .LBB17_10
; %bb.5:                                ;   in Loop: Header=BB17_4 Depth=1
	v_mov_b32_e32 v13, 15
	s_mov_b32 s5, exec_lo
	v_cmpx_nle_f32_e32 0x42e20000, v14
	s_cbranch_execz .LBB17_9
; %bb.6:                                ;   in Loop: Header=BB17_4 Depth=1
	v_mov_b32_e32 v13, 15
	v_mov_b32_e32 v15, 0
	s_mov_b32 s6, 0
	.p2align	6
.LBB17_7:                               ;   Parent Loop BB17_4 Depth=1
                                        ; =>  This Inner Loop Header: Depth=2
	s_delay_alu instid0(VALU_DEP_1) | instskip(SKIP_3) | instid1(VALU_DEP_1)
	v_add_nc_u32_e32 v16, v15, v13
	s_getpc_b64 s[2:3]
	s_add_u32 s2, s2, _ZL13kvalues_iq4nl@rel32@lo+4
	s_addc_u32 s3, s3, _ZL13kvalues_iq4nl@rel32@hi+12
	v_lshrrev_b32_e32 v17, 31, v16
	s_delay_alu instid0(VALU_DEP_1) | instskip(NEXT) | instid1(VALU_DEP_1)
	v_add_nc_u32_e32 v16, v16, v17
	v_ashrrev_i32_e32 v18, 1, v16
	s_delay_alu instid0(VALU_DEP_1) | instskip(SKIP_1) | instid1(VALU_DEP_2)
	v_ashrrev_i32_e32 v17, 31, v18
	v_add_co_u32 v16, vcc_lo, v18, s2
	v_add_co_ci_u32_e32 v17, vcc_lo, s3, v17, vcc_lo
	global_load_i8 v16, v[16:17], off
	s_waitcnt vmcnt(0)
	v_cvt_f32_i32_e32 v16, v16
	s_delay_alu instid0(VALU_DEP_1) | instskip(SKIP_2) | instid1(VALU_DEP_1)
	v_cmp_lt_f32_e32 vcc_lo, v14, v16
	v_cndmask_b32_e32 v13, v13, v18, vcc_lo
	v_cndmask_b32_e32 v15, v18, v15, vcc_lo
	v_sub_nc_u32_e32 v16, v13, v15
	s_delay_alu instid0(VALU_DEP_1) | instskip(SKIP_1) | instid1(SALU_CYCLE_1)
	v_cmp_gt_i32_e32 vcc_lo, 2, v16
	s_or_b32 s6, vcc_lo, s6
	s_and_not1_b32 exec_lo, exec_lo, s6
	s_cbranch_execnz .LBB17_7
; %bb.8:                                ;   in Loop: Header=BB17_4 Depth=1
	s_or_b32 exec_lo, exec_lo, s6
	v_add_nc_u32_e32 v19, -1, v13
	v_ashrrev_i32_e32 v18, 31, v13
	s_delay_alu instid0(VALU_DEP_2) | instskip(SKIP_1) | instid1(VALU_DEP_2)
	v_ashrrev_i32_e32 v16, 31, v19
	v_add_co_u32 v15, vcc_lo, v19, s2
	v_add_co_ci_u32_e32 v16, vcc_lo, s3, v16, vcc_lo
	v_add_co_u32 v17, vcc_lo, v13, s2
	v_add_co_ci_u32_e32 v18, vcc_lo, s3, v18, vcc_lo
	s_clause 0x1
	global_load_i8 v15, v[15:16], off
	global_load_i8 v16, v[17:18], off
	s_waitcnt vmcnt(1)
	v_cvt_f32_i32_e32 v15, v15
	s_waitcnt vmcnt(0)
	v_cvt_f32_i32_e32 v16, v16
	s_delay_alu instid0(VALU_DEP_1) | instskip(NEXT) | instid1(VALU_DEP_1)
	v_dual_sub_f32 v15, v14, v15 :: v_dual_sub_f32 v14, v16, v14
	v_cmp_lt_f32_e32 vcc_lo, v15, v14
	v_cndmask_b32_e32 v13, v13, v19, vcc_lo
.LBB17_9:                               ;   in Loop: Header=BB17_4 Depth=1
	s_or_b32 exec_lo, exec_lo, s5
.LBB17_10:                              ;   in Loop: Header=BB17_4 Depth=1
	s_delay_alu instid0(SALU_CYCLE_1) | instskip(SKIP_3) | instid1(VALU_DEP_1)
	s_or_b32 exec_lo, exec_lo, s4
	s_waitcnt vmcnt(0)
	v_mul_f32_e32 v14, v9, v11
	s_mov_b32 s4, exec_lo
	v_cmpx_nge_f32_e32 0xc2fe0000, v14
	s_cbranch_execz .LBB17_3
; %bb.11:                               ;   in Loop: Header=BB17_4 Depth=1
	v_mov_b32_e32 v12, 15
	s_mov_b32 s5, exec_lo
	v_cmpx_nle_f32_e32 0x42e20000, v14
	s_cbranch_execz .LBB17_2
; %bb.12:                               ;   in Loop: Header=BB17_4 Depth=1
	v_dual_mov_b32 v12, 15 :: v_dual_mov_b32 v15, 0
	s_mov_b32 s6, 0
	.p2align	6
.LBB17_13:                              ;   Parent Loop BB17_4 Depth=1
                                        ; =>  This Inner Loop Header: Depth=2
	s_delay_alu instid0(VALU_DEP_1) | instskip(SKIP_3) | instid1(VALU_DEP_1)
	v_add_nc_u32_e32 v16, v15, v12
	s_getpc_b64 s[2:3]
	s_add_u32 s2, s2, _ZL13kvalues_iq4nl@rel32@lo+4
	s_addc_u32 s3, s3, _ZL13kvalues_iq4nl@rel32@hi+12
	v_lshrrev_b32_e32 v17, 31, v16
	s_delay_alu instid0(VALU_DEP_1) | instskip(NEXT) | instid1(VALU_DEP_1)
	v_add_nc_u32_e32 v16, v16, v17
	v_ashrrev_i32_e32 v18, 1, v16
	s_delay_alu instid0(VALU_DEP_1) | instskip(SKIP_1) | instid1(VALU_DEP_2)
	v_ashrrev_i32_e32 v17, 31, v18
	v_add_co_u32 v16, vcc_lo, v18, s2
	v_add_co_ci_u32_e32 v17, vcc_lo, s3, v17, vcc_lo
	global_load_i8 v16, v[16:17], off
	s_waitcnt vmcnt(0)
	v_cvt_f32_i32_e32 v16, v16
	s_delay_alu instid0(VALU_DEP_1) | instskip(SKIP_1) | instid1(VALU_DEP_1)
	v_cmp_lt_f32_e32 vcc_lo, v14, v16
	v_dual_cndmask_b32 v15, v18, v15 :: v_dual_cndmask_b32 v12, v12, v18
	v_sub_nc_u32_e32 v16, v12, v15
	s_delay_alu instid0(VALU_DEP_1) | instskip(SKIP_1) | instid1(SALU_CYCLE_1)
	v_cmp_gt_i32_e32 vcc_lo, 2, v16
	s_or_b32 s6, vcc_lo, s6
	s_and_not1_b32 exec_lo, exec_lo, s6
	s_cbranch_execnz .LBB17_13
; %bb.14:                               ;   in Loop: Header=BB17_4 Depth=1
	s_or_b32 exec_lo, exec_lo, s6
	v_add_nc_u32_e32 v19, -1, v12
	v_ashrrev_i32_e32 v18, 31, v12
	s_delay_alu instid0(VALU_DEP_2) | instskip(SKIP_1) | instid1(VALU_DEP_2)
	v_ashrrev_i32_e32 v16, 31, v19
	v_add_co_u32 v15, vcc_lo, v19, s2
	v_add_co_ci_u32_e32 v16, vcc_lo, s3, v16, vcc_lo
	v_add_co_u32 v17, vcc_lo, v12, s2
	v_add_co_ci_u32_e32 v18, vcc_lo, s3, v18, vcc_lo
	s_clause 0x1
	global_load_i8 v15, v[15:16], off
	global_load_i8 v16, v[17:18], off
	s_waitcnt vmcnt(1)
	v_cvt_f32_i32_e32 v15, v15
	s_waitcnt vmcnt(0)
	v_cvt_f32_i32_e32 v16, v16
	s_delay_alu instid0(VALU_DEP_1) | instskip(NEXT) | instid1(VALU_DEP_1)
	v_dual_sub_f32 v15, v14, v15 :: v_dual_sub_f32 v14, v16, v14
	v_cmp_lt_f32_e32 vcc_lo, v15, v14
	v_cndmask_b32_e32 v12, v12, v19, vcc_lo
	s_branch .LBB17_2
.LBB17_15:
	v_div_scale_f32 v2, null, v0, v0, v1
	s_delay_alu instid0(VALU_DEP_1) | instskip(SKIP_2) | instid1(VALU_DEP_1)
	v_rcp_f32_e32 v3, v2
	s_waitcnt_depctr 0xfff
	v_fma_f32 v7, -v2, v3, 1.0
	v_fmac_f32_e32 v3, v7, v3
	v_div_scale_f32 v7, vcc_lo, v1, v0, v1
	s_delay_alu instid0(VALU_DEP_1) | instskip(NEXT) | instid1(VALU_DEP_1)
	v_mul_f32_e32 v8, v7, v3
	v_fma_f32 v9, -v2, v8, v7
	s_delay_alu instid0(VALU_DEP_1) | instskip(NEXT) | instid1(VALU_DEP_1)
	v_fmac_f32_e32 v8, v9, v3
	v_fma_f32 v2, -v2, v8, v7
	s_delay_alu instid0(VALU_DEP_1) | instskip(SKIP_1) | instid1(VALU_DEP_2)
	v_div_fmas_f32 v2, v2, v3, v8
	v_cmp_lt_f32_e32 vcc_lo, 0, v0
	v_div_fixup_f32 v1, v2, v0, v1
	s_delay_alu instid0(VALU_DEP_1) | instskip(NEXT) | instid1(VALU_DEP_1)
	v_cndmask_b32_e32 v0, v6, v1, vcc_lo
	v_cvt_f16_f32_e32 v0, v0
	global_store_b16 v[4:5], v0, off
.LBB17_16:
	s_nop 0
	s_sendmsg sendmsg(MSG_DEALLOC_VGPRS)
	s_endpgm
	.section	.rodata,"a",@progbits
	.p2align	6, 0x0
	.amdhsa_kernel _ZL16k_set_rows_quantIi12block_iq4_nlLi32ETnPFvPKfPT0_EXadL_ZL25quantize_f32_iq4_nl_blockS2_PS0_EEEvS2_PKT_S4_llllllllllllll15HIP_vector_typeIjLj3EESC_SC_SC_SC_
		.amdhsa_group_segment_fixed_size 0
		.amdhsa_private_segment_fixed_size 0
		.amdhsa_kernarg_size 456
		.amdhsa_user_sgpr_count 15
		.amdhsa_user_sgpr_dispatch_ptr 0
		.amdhsa_user_sgpr_queue_ptr 0
		.amdhsa_user_sgpr_kernarg_segment_ptr 1
		.amdhsa_user_sgpr_dispatch_id 0
		.amdhsa_user_sgpr_private_segment_size 0
		.amdhsa_wavefront_size32 1
		.amdhsa_uses_dynamic_stack 0
		.amdhsa_enable_private_segment 0
		.amdhsa_system_sgpr_workgroup_id_x 1
		.amdhsa_system_sgpr_workgroup_id_y 0
		.amdhsa_system_sgpr_workgroup_id_z 0
		.amdhsa_system_sgpr_workgroup_info 0
		.amdhsa_system_vgpr_workitem_id 0
		.amdhsa_next_free_vgpr 40
		.amdhsa_next_free_sgpr 32
		.amdhsa_reserve_vcc 1
		.amdhsa_float_round_mode_32 0
		.amdhsa_float_round_mode_16_64 0
		.amdhsa_float_denorm_mode_32 3
		.amdhsa_float_denorm_mode_16_64 3
		.amdhsa_dx10_clamp 1
		.amdhsa_ieee_mode 1
		.amdhsa_fp16_overflow 0
		.amdhsa_workgroup_processor_mode 1
		.amdhsa_memory_ordered 1
		.amdhsa_forward_progress 0
		.amdhsa_shared_vgpr_count 0
		.amdhsa_exception_fp_ieee_invalid_op 0
		.amdhsa_exception_fp_denorm_src 0
		.amdhsa_exception_fp_ieee_div_zero 0
		.amdhsa_exception_fp_ieee_overflow 0
		.amdhsa_exception_fp_ieee_underflow 0
		.amdhsa_exception_fp_ieee_inexact 0
		.amdhsa_exception_int_div_zero 0
	.end_amdhsa_kernel
	.section	.text._ZL16k_set_rows_quantIi12block_iq4_nlLi32ETnPFvPKfPT0_EXadL_ZL25quantize_f32_iq4_nl_blockS2_PS0_EEEvS2_PKT_S4_llllllllllllll15HIP_vector_typeIjLj3EESC_SC_SC_SC_,"axG",@progbits,_ZL16k_set_rows_quantIi12block_iq4_nlLi32ETnPFvPKfPT0_EXadL_ZL25quantize_f32_iq4_nl_blockS2_PS0_EEEvS2_PKT_S4_llllllllllllll15HIP_vector_typeIjLj3EESC_SC_SC_SC_,comdat
.Lfunc_end17:
	.size	_ZL16k_set_rows_quantIi12block_iq4_nlLi32ETnPFvPKfPT0_EXadL_ZL25quantize_f32_iq4_nl_blockS2_PS0_EEEvS2_PKT_S4_llllllllllllll15HIP_vector_typeIjLj3EESC_SC_SC_SC_, .Lfunc_end17-_ZL16k_set_rows_quantIi12block_iq4_nlLi32ETnPFvPKfPT0_EXadL_ZL25quantize_f32_iq4_nl_blockS2_PS0_EEEvS2_PKT_S4_llllllllllllll15HIP_vector_typeIjLj3EESC_SC_SC_SC_
                                        ; -- End function
	.section	.AMDGPU.csdata,"",@progbits
; Kernel info:
; codeLenInByte = 3224
; NumSgprs: 34
; NumVgprs: 40
; ScratchSize: 0
; MemoryBound: 0
; FloatMode: 240
; IeeeMode: 1
; LDSByteSize: 0 bytes/workgroup (compile time only)
; SGPRBlocks: 4
; VGPRBlocks: 4
; NumSGPRsForWavesPerEU: 34
; NumVGPRsForWavesPerEU: 40
; Occupancy: 16
; WaveLimiterHint : 1
; COMPUTE_PGM_RSRC2:SCRATCH_EN: 0
; COMPUTE_PGM_RSRC2:USER_SGPR: 15
; COMPUTE_PGM_RSRC2:TRAP_HANDLER: 0
; COMPUTE_PGM_RSRC2:TGID_X_EN: 1
; COMPUTE_PGM_RSRC2:TGID_Y_EN: 0
; COMPUTE_PGM_RSRC2:TGID_Z_EN: 0
; COMPUTE_PGM_RSRC2:TIDIG_COMP_CNT: 0
	.text
	.p2alignl 7, 3214868480
	.fill 96, 4, 3214868480
	.type	_ZL13kvalues_iq4nl,@object      ; @_ZL13kvalues_iq4nl
	.section	.rodata.cst16,"aM",@progbits,16
	.p2align	4, 0x0
_ZL13kvalues_iq4nl:
	.ascii	"\201\230\255\277\317\335\352\366\001\r\031&5EYq"
	.size	_ZL13kvalues_iq4nl, 16

	.type	__hip_cuid_91a70496ae729452,@object ; @__hip_cuid_91a70496ae729452
	.section	.bss,"aw",@nobits
	.globl	__hip_cuid_91a70496ae729452
__hip_cuid_91a70496ae729452:
	.byte	0                               ; 0x0
	.size	__hip_cuid_91a70496ae729452, 1

	.ident	"AMD clang version 19.0.0git (https://github.com/RadeonOpenCompute/llvm-project roc-6.4.0 25133 c7fe45cf4b819c5991fe208aaa96edf142730f1d)"
	.section	".note.GNU-stack","",@progbits
	.addrsig
	.addrsig_sym __hip_cuid_91a70496ae729452
	.amdgpu_metadata
---
amdhsa.kernels:
  - .args:
      - .address_space:  global
        .offset:         0
        .size:           8
        .value_kind:     global_buffer
      - .address_space:  global
        .offset:         8
        .size:           8
        .value_kind:     global_buffer
      - .address_space:  global
        .offset:         16
        .size:           8
        .value_kind:     global_buffer
      - .offset:         24
        .size:           8
        .value_kind:     by_value
      - .offset:         32
        .size:           8
        .value_kind:     by_value
      - .offset:         40
        .size:           8
        .value_kind:     by_value
      - .offset:         48
        .size:           8
        .value_kind:     by_value
      - .offset:         56
        .size:           8
        .value_kind:     by_value
      - .offset:         64
        .size:           8
        .value_kind:     by_value
      - .offset:         72
        .size:           8
        .value_kind:     by_value
      - .offset:         80
        .size:           8
        .value_kind:     by_value
      - .offset:         88
        .size:           8
        .value_kind:     by_value
      - .offset:         96
        .size:           8
        .value_kind:     by_value
      - .offset:         104
        .size:           8
        .value_kind:     by_value
      - .offset:         112
        .size:           8
        .value_kind:     by_value
      - .offset:         120
        .size:           8
        .value_kind:     by_value
      - .offset:         128
        .size:           8
        .value_kind:     by_value
      - .offset:         136
        .size:           12
        .value_kind:     by_value
      - .offset:         148
        .size:           12
        .value_kind:     by_value
      - .offset:         160
        .size:           12
        .value_kind:     by_value
      - .offset:         172
        .size:           12
        .value_kind:     by_value
      - .offset:         184
        .size:           12
        .value_kind:     by_value
      - .offset:         200
        .size:           4
        .value_kind:     hidden_block_count_x
      - .offset:         204
        .size:           4
        .value_kind:     hidden_block_count_y
      - .offset:         208
        .size:           4
        .value_kind:     hidden_block_count_z
      - .offset:         212
        .size:           2
        .value_kind:     hidden_group_size_x
      - .offset:         214
        .size:           2
        .value_kind:     hidden_group_size_y
      - .offset:         216
        .size:           2
        .value_kind:     hidden_group_size_z
      - .offset:         218
        .size:           2
        .value_kind:     hidden_remainder_x
      - .offset:         220
        .size:           2
        .value_kind:     hidden_remainder_y
      - .offset:         222
        .size:           2
        .value_kind:     hidden_remainder_z
      - .offset:         240
        .size:           8
        .value_kind:     hidden_global_offset_x
      - .offset:         248
        .size:           8
        .value_kind:     hidden_global_offset_y
      - .offset:         256
        .size:           8
        .value_kind:     hidden_global_offset_z
      - .offset:         264
        .size:           2
        .value_kind:     hidden_grid_dims
    .group_segment_fixed_size: 0
    .kernarg_segment_align: 8
    .kernarg_segment_size: 456
    .language:       OpenCL C
    .language_version:
      - 2
      - 0
    .max_flat_workgroup_size: 1024
    .name:           _ZL10k_set_rowsIflfEvPKT_PKT0_PT1_llllllllllllll15HIP_vector_typeIjLj3EES9_S9_S9_S9_
    .private_segment_fixed_size: 0
    .sgpr_count:     46
    .sgpr_spill_count: 0
    .symbol:         _ZL10k_set_rowsIflfEvPKT_PKT0_PT1_llllllllllllll15HIP_vector_typeIjLj3EES9_S9_S9_S9_.kd
    .uniform_work_group_size: 1
    .uses_dynamic_stack: false
    .vgpr_count:     18
    .vgpr_spill_count: 0
    .wavefront_size: 32
    .workgroup_processor_mode: 1
  - .args:
      - .address_space:  global
        .offset:         0
        .size:           8
        .value_kind:     global_buffer
      - .address_space:  global
        .offset:         8
        .size:           8
        .value_kind:     global_buffer
      - .address_space:  global
        .offset:         16
        .size:           8
        .value_kind:     global_buffer
      - .offset:         24
        .size:           8
        .value_kind:     by_value
      - .offset:         32
        .size:           8
        .value_kind:     by_value
      - .offset:         40
        .size:           8
        .value_kind:     by_value
      - .offset:         48
        .size:           8
        .value_kind:     by_value
      - .offset:         56
        .size:           8
        .value_kind:     by_value
      - .offset:         64
        .size:           8
        .value_kind:     by_value
      - .offset:         72
        .size:           8
        .value_kind:     by_value
      - .offset:         80
        .size:           8
        .value_kind:     by_value
      - .offset:         88
        .size:           8
        .value_kind:     by_value
      - .offset:         96
        .size:           8
        .value_kind:     by_value
      - .offset:         104
        .size:           8
        .value_kind:     by_value
      - .offset:         112
        .size:           8
        .value_kind:     by_value
      - .offset:         120
        .size:           8
        .value_kind:     by_value
      - .offset:         128
        .size:           8
        .value_kind:     by_value
      - .offset:         136
        .size:           12
        .value_kind:     by_value
      - .offset:         148
        .size:           12
        .value_kind:     by_value
      - .offset:         160
        .size:           12
        .value_kind:     by_value
      - .offset:         172
        .size:           12
        .value_kind:     by_value
      - .offset:         184
        .size:           12
        .value_kind:     by_value
      - .offset:         200
        .size:           4
        .value_kind:     hidden_block_count_x
      - .offset:         204
        .size:           4
        .value_kind:     hidden_block_count_y
      - .offset:         208
        .size:           4
        .value_kind:     hidden_block_count_z
      - .offset:         212
        .size:           2
        .value_kind:     hidden_group_size_x
      - .offset:         214
        .size:           2
        .value_kind:     hidden_group_size_y
      - .offset:         216
        .size:           2
        .value_kind:     hidden_group_size_z
      - .offset:         218
        .size:           2
        .value_kind:     hidden_remainder_x
      - .offset:         220
        .size:           2
        .value_kind:     hidden_remainder_y
      - .offset:         222
        .size:           2
        .value_kind:     hidden_remainder_z
      - .offset:         240
        .size:           8
        .value_kind:     hidden_global_offset_x
      - .offset:         248
        .size:           8
        .value_kind:     hidden_global_offset_y
      - .offset:         256
        .size:           8
        .value_kind:     hidden_global_offset_z
      - .offset:         264
        .size:           2
        .value_kind:     hidden_grid_dims
    .group_segment_fixed_size: 0
    .kernarg_segment_align: 8
    .kernarg_segment_size: 456
    .language:       OpenCL C
    .language_version:
      - 2
      - 0
    .max_flat_workgroup_size: 1024
    .name:           _ZL10k_set_rowsIfl6__halfEvPKT_PKT0_PT1_llllllllllllll15HIP_vector_typeIjLj3EESA_SA_SA_SA_
    .private_segment_fixed_size: 0
    .sgpr_count:     46
    .sgpr_spill_count: 0
    .symbol:         _ZL10k_set_rowsIfl6__halfEvPKT_PKT0_PT1_llllllllllllll15HIP_vector_typeIjLj3EESA_SA_SA_SA_.kd
    .uniform_work_group_size: 1
    .uses_dynamic_stack: false
    .vgpr_count:     21
    .vgpr_spill_count: 0
    .wavefront_size: 32
    .workgroup_processor_mode: 1
  - .args:
      - .address_space:  global
        .offset:         0
        .size:           8
        .value_kind:     global_buffer
      - .address_space:  global
        .offset:         8
        .size:           8
        .value_kind:     global_buffer
      - .address_space:  global
        .offset:         16
        .size:           8
        .value_kind:     global_buffer
      - .offset:         24
        .size:           8
        .value_kind:     by_value
      - .offset:         32
        .size:           8
        .value_kind:     by_value
      - .offset:         40
        .size:           8
        .value_kind:     by_value
      - .offset:         48
        .size:           8
        .value_kind:     by_value
      - .offset:         56
        .size:           8
        .value_kind:     by_value
      - .offset:         64
        .size:           8
        .value_kind:     by_value
      - .offset:         72
        .size:           8
        .value_kind:     by_value
      - .offset:         80
        .size:           8
        .value_kind:     by_value
      - .offset:         88
        .size:           8
        .value_kind:     by_value
      - .offset:         96
        .size:           8
        .value_kind:     by_value
      - .offset:         104
        .size:           8
        .value_kind:     by_value
      - .offset:         112
        .size:           8
        .value_kind:     by_value
      - .offset:         120
        .size:           8
        .value_kind:     by_value
      - .offset:         128
        .size:           8
        .value_kind:     by_value
      - .offset:         136
        .size:           12
        .value_kind:     by_value
      - .offset:         148
        .size:           12
        .value_kind:     by_value
      - .offset:         160
        .size:           12
        .value_kind:     by_value
      - .offset:         172
        .size:           12
        .value_kind:     by_value
      - .offset:         184
        .size:           12
        .value_kind:     by_value
      - .offset:         200
        .size:           4
        .value_kind:     hidden_block_count_x
      - .offset:         204
        .size:           4
        .value_kind:     hidden_block_count_y
      - .offset:         208
        .size:           4
        .value_kind:     hidden_block_count_z
      - .offset:         212
        .size:           2
        .value_kind:     hidden_group_size_x
      - .offset:         214
        .size:           2
        .value_kind:     hidden_group_size_y
      - .offset:         216
        .size:           2
        .value_kind:     hidden_group_size_z
      - .offset:         218
        .size:           2
        .value_kind:     hidden_remainder_x
      - .offset:         220
        .size:           2
        .value_kind:     hidden_remainder_y
      - .offset:         222
        .size:           2
        .value_kind:     hidden_remainder_z
      - .offset:         240
        .size:           8
        .value_kind:     hidden_global_offset_x
      - .offset:         248
        .size:           8
        .value_kind:     hidden_global_offset_y
      - .offset:         256
        .size:           8
        .value_kind:     hidden_global_offset_z
      - .offset:         264
        .size:           2
        .value_kind:     hidden_grid_dims
    .group_segment_fixed_size: 0
    .kernarg_segment_align: 8
    .kernarg_segment_size: 456
    .language:       OpenCL C
    .language_version:
      - 2
      - 0
    .max_flat_workgroup_size: 1024
    .name:           _ZL10k_set_rowsIfl14__hip_bfloat16EvPKT_PKT0_PT1_llllllllllllll15HIP_vector_typeIjLj3EESA_SA_SA_SA_
    .private_segment_fixed_size: 0
    .sgpr_count:     46
    .sgpr_spill_count: 0
    .symbol:         _ZL10k_set_rowsIfl14__hip_bfloat16EvPKT_PKT0_PT1_llllllllllllll15HIP_vector_typeIjLj3EESA_SA_SA_SA_.kd
    .uniform_work_group_size: 1
    .uses_dynamic_stack: false
    .vgpr_count:     23
    .vgpr_spill_count: 0
    .wavefront_size: 32
    .workgroup_processor_mode: 1
  - .args:
      - .actual_access:  read_only
        .address_space:  global
        .offset:         0
        .size:           8
        .value_kind:     global_buffer
      - .actual_access:  read_only
        .address_space:  global
        .offset:         8
        .size:           8
        .value_kind:     global_buffer
      - .actual_access:  write_only
        .address_space:  global
        .offset:         16
        .size:           8
        .value_kind:     global_buffer
      - .offset:         24
        .size:           8
        .value_kind:     by_value
      - .offset:         32
        .size:           8
        .value_kind:     by_value
      - .offset:         40
        .size:           8
        .value_kind:     by_value
      - .offset:         48
        .size:           8
        .value_kind:     by_value
      - .offset:         56
        .size:           8
        .value_kind:     by_value
      - .offset:         64
        .size:           8
        .value_kind:     by_value
      - .offset:         72
        .size:           8
        .value_kind:     by_value
      - .offset:         80
        .size:           8
        .value_kind:     by_value
      - .offset:         88
        .size:           8
        .value_kind:     by_value
      - .offset:         96
        .size:           8
        .value_kind:     by_value
      - .offset:         104
        .size:           8
        .value_kind:     by_value
      - .offset:         112
        .size:           8
        .value_kind:     by_value
      - .offset:         120
        .size:           8
        .value_kind:     by_value
      - .offset:         128
        .size:           8
        .value_kind:     by_value
      - .offset:         136
        .size:           12
        .value_kind:     by_value
      - .offset:         148
        .size:           12
        .value_kind:     by_value
      - .offset:         160
        .size:           12
        .value_kind:     by_value
      - .offset:         172
        .size:           12
        .value_kind:     by_value
      - .offset:         184
        .size:           12
        .value_kind:     by_value
      - .offset:         200
        .size:           4
        .value_kind:     hidden_block_count_x
      - .offset:         204
        .size:           4
        .value_kind:     hidden_block_count_y
      - .offset:         208
        .size:           4
        .value_kind:     hidden_block_count_z
      - .offset:         212
        .size:           2
        .value_kind:     hidden_group_size_x
      - .offset:         214
        .size:           2
        .value_kind:     hidden_group_size_y
      - .offset:         216
        .size:           2
        .value_kind:     hidden_group_size_z
      - .offset:         218
        .size:           2
        .value_kind:     hidden_remainder_x
      - .offset:         220
        .size:           2
        .value_kind:     hidden_remainder_y
      - .offset:         222
        .size:           2
        .value_kind:     hidden_remainder_z
      - .offset:         240
        .size:           8
        .value_kind:     hidden_global_offset_x
      - .offset:         248
        .size:           8
        .value_kind:     hidden_global_offset_y
      - .offset:         256
        .size:           8
        .value_kind:     hidden_global_offset_z
      - .offset:         264
        .size:           2
        .value_kind:     hidden_grid_dims
    .group_segment_fixed_size: 0
    .kernarg_segment_align: 8
    .kernarg_segment_size: 456
    .language:       OpenCL C
    .language_version:
      - 2
      - 0
    .max_flat_workgroup_size: 1024
    .name:           _ZL16k_set_rows_quantIl10block_q4_0Li32ETnPFvPKfPT0_EXadL_ZL23quantize_f32_q4_0_blockS2_PS0_EEEvS2_PKT_S4_llllllllllllll15HIP_vector_typeIjLj3EESC_SC_SC_SC_
    .private_segment_fixed_size: 0
    .sgpr_count:     34
    .sgpr_spill_count: 0
    .symbol:         _ZL16k_set_rows_quantIl10block_q4_0Li32ETnPFvPKfPT0_EXadL_ZL23quantize_f32_q4_0_blockS2_PS0_EEEvS2_PKT_S4_llllllllllllll15HIP_vector_typeIjLj3EESC_SC_SC_SC_.kd
    .uniform_work_group_size: 1
    .uses_dynamic_stack: false
    .vgpr_count:     71
    .vgpr_spill_count: 0
    .wavefront_size: 32
    .workgroup_processor_mode: 1
  - .args:
      - .actual_access:  read_only
        .address_space:  global
        .offset:         0
        .size:           8
        .value_kind:     global_buffer
      - .actual_access:  read_only
        .address_space:  global
        .offset:         8
        .size:           8
        .value_kind:     global_buffer
      - .actual_access:  write_only
        .address_space:  global
        .offset:         16
        .size:           8
        .value_kind:     global_buffer
      - .offset:         24
        .size:           8
        .value_kind:     by_value
      - .offset:         32
        .size:           8
        .value_kind:     by_value
      - .offset:         40
        .size:           8
        .value_kind:     by_value
      - .offset:         48
        .size:           8
        .value_kind:     by_value
      - .offset:         56
        .size:           8
        .value_kind:     by_value
      - .offset:         64
        .size:           8
        .value_kind:     by_value
      - .offset:         72
        .size:           8
        .value_kind:     by_value
      - .offset:         80
        .size:           8
        .value_kind:     by_value
      - .offset:         88
        .size:           8
        .value_kind:     by_value
      - .offset:         96
        .size:           8
        .value_kind:     by_value
      - .offset:         104
        .size:           8
        .value_kind:     by_value
      - .offset:         112
        .size:           8
        .value_kind:     by_value
      - .offset:         120
        .size:           8
        .value_kind:     by_value
      - .offset:         128
        .size:           8
        .value_kind:     by_value
      - .offset:         136
        .size:           12
        .value_kind:     by_value
      - .offset:         148
        .size:           12
        .value_kind:     by_value
      - .offset:         160
        .size:           12
        .value_kind:     by_value
      - .offset:         172
        .size:           12
        .value_kind:     by_value
      - .offset:         184
        .size:           12
        .value_kind:     by_value
      - .offset:         200
        .size:           4
        .value_kind:     hidden_block_count_x
      - .offset:         204
        .size:           4
        .value_kind:     hidden_block_count_y
      - .offset:         208
        .size:           4
        .value_kind:     hidden_block_count_z
      - .offset:         212
        .size:           2
        .value_kind:     hidden_group_size_x
      - .offset:         214
        .size:           2
        .value_kind:     hidden_group_size_y
      - .offset:         216
        .size:           2
        .value_kind:     hidden_group_size_z
      - .offset:         218
        .size:           2
        .value_kind:     hidden_remainder_x
      - .offset:         220
        .size:           2
        .value_kind:     hidden_remainder_y
      - .offset:         222
        .size:           2
        .value_kind:     hidden_remainder_z
      - .offset:         240
        .size:           8
        .value_kind:     hidden_global_offset_x
      - .offset:         248
        .size:           8
        .value_kind:     hidden_global_offset_y
      - .offset:         256
        .size:           8
        .value_kind:     hidden_global_offset_z
      - .offset:         264
        .size:           2
        .value_kind:     hidden_grid_dims
    .group_segment_fixed_size: 0
    .kernarg_segment_align: 8
    .kernarg_segment_size: 456
    .language:       OpenCL C
    .language_version:
      - 2
      - 0
    .max_flat_workgroup_size: 1024
    .name:           _ZL16k_set_rows_quantIl10block_q4_1Li32ETnPFvPKfPT0_EXadL_ZL23quantize_f32_q4_1_blockS2_PS0_EEEvS2_PKT_S4_llllllllllllll15HIP_vector_typeIjLj3EESC_SC_SC_SC_
    .private_segment_fixed_size: 0
    .sgpr_count:     34
    .sgpr_spill_count: 0
    .symbol:         _ZL16k_set_rows_quantIl10block_q4_1Li32ETnPFvPKfPT0_EXadL_ZL23quantize_f32_q4_1_blockS2_PS0_EEEvS2_PKT_S4_llllllllllllll15HIP_vector_typeIjLj3EESC_SC_SC_SC_.kd
    .uniform_work_group_size: 1
    .uses_dynamic_stack: false
    .vgpr_count:     72
    .vgpr_spill_count: 0
    .wavefront_size: 32
    .workgroup_processor_mode: 1
  - .args:
      - .actual_access:  read_only
        .address_space:  global
        .offset:         0
        .size:           8
        .value_kind:     global_buffer
      - .actual_access:  read_only
        .address_space:  global
        .offset:         8
        .size:           8
        .value_kind:     global_buffer
      - .actual_access:  write_only
        .address_space:  global
        .offset:         16
        .size:           8
        .value_kind:     global_buffer
      - .offset:         24
        .size:           8
        .value_kind:     by_value
      - .offset:         32
        .size:           8
        .value_kind:     by_value
      - .offset:         40
        .size:           8
        .value_kind:     by_value
      - .offset:         48
        .size:           8
        .value_kind:     by_value
      - .offset:         56
        .size:           8
        .value_kind:     by_value
      - .offset:         64
        .size:           8
        .value_kind:     by_value
      - .offset:         72
        .size:           8
        .value_kind:     by_value
      - .offset:         80
        .size:           8
        .value_kind:     by_value
      - .offset:         88
        .size:           8
        .value_kind:     by_value
      - .offset:         96
        .size:           8
        .value_kind:     by_value
      - .offset:         104
        .size:           8
        .value_kind:     by_value
      - .offset:         112
        .size:           8
        .value_kind:     by_value
      - .offset:         120
        .size:           8
        .value_kind:     by_value
      - .offset:         128
        .size:           8
        .value_kind:     by_value
      - .offset:         136
        .size:           12
        .value_kind:     by_value
      - .offset:         148
        .size:           12
        .value_kind:     by_value
      - .offset:         160
        .size:           12
        .value_kind:     by_value
      - .offset:         172
        .size:           12
        .value_kind:     by_value
      - .offset:         184
        .size:           12
        .value_kind:     by_value
      - .offset:         200
        .size:           4
        .value_kind:     hidden_block_count_x
      - .offset:         204
        .size:           4
        .value_kind:     hidden_block_count_y
      - .offset:         208
        .size:           4
        .value_kind:     hidden_block_count_z
      - .offset:         212
        .size:           2
        .value_kind:     hidden_group_size_x
      - .offset:         214
        .size:           2
        .value_kind:     hidden_group_size_y
      - .offset:         216
        .size:           2
        .value_kind:     hidden_group_size_z
      - .offset:         218
        .size:           2
        .value_kind:     hidden_remainder_x
      - .offset:         220
        .size:           2
        .value_kind:     hidden_remainder_y
      - .offset:         222
        .size:           2
        .value_kind:     hidden_remainder_z
      - .offset:         240
        .size:           8
        .value_kind:     hidden_global_offset_x
      - .offset:         248
        .size:           8
        .value_kind:     hidden_global_offset_y
      - .offset:         256
        .size:           8
        .value_kind:     hidden_global_offset_z
      - .offset:         264
        .size:           2
        .value_kind:     hidden_grid_dims
    .group_segment_fixed_size: 0
    .kernarg_segment_align: 8
    .kernarg_segment_size: 456
    .language:       OpenCL C
    .language_version:
      - 2
      - 0
    .max_flat_workgroup_size: 1024
    .name:           _ZL16k_set_rows_quantIl10block_q5_0Li32ETnPFvPKfPT0_EXadL_ZL23quantize_f32_q5_0_blockS2_PS0_EEEvS2_PKT_S4_llllllllllllll15HIP_vector_typeIjLj3EESC_SC_SC_SC_
    .private_segment_fixed_size: 0
    .sgpr_count:     34
    .sgpr_spill_count: 0
    .symbol:         _ZL16k_set_rows_quantIl10block_q5_0Li32ETnPFvPKfPT0_EXadL_ZL23quantize_f32_q5_0_blockS2_PS0_EEEvS2_PKT_S4_llllllllllllll15HIP_vector_typeIjLj3EESC_SC_SC_SC_.kd
    .uniform_work_group_size: 1
    .uses_dynamic_stack: false
    .vgpr_count:     49
    .vgpr_spill_count: 0
    .wavefront_size: 32
    .workgroup_processor_mode: 1
  - .args:
      - .actual_access:  read_only
        .address_space:  global
        .offset:         0
        .size:           8
        .value_kind:     global_buffer
      - .actual_access:  read_only
        .address_space:  global
        .offset:         8
        .size:           8
        .value_kind:     global_buffer
      - .actual_access:  write_only
        .address_space:  global
        .offset:         16
        .size:           8
        .value_kind:     global_buffer
      - .offset:         24
        .size:           8
        .value_kind:     by_value
      - .offset:         32
        .size:           8
        .value_kind:     by_value
      - .offset:         40
        .size:           8
        .value_kind:     by_value
      - .offset:         48
        .size:           8
        .value_kind:     by_value
      - .offset:         56
        .size:           8
        .value_kind:     by_value
      - .offset:         64
        .size:           8
        .value_kind:     by_value
      - .offset:         72
        .size:           8
        .value_kind:     by_value
      - .offset:         80
        .size:           8
        .value_kind:     by_value
      - .offset:         88
        .size:           8
        .value_kind:     by_value
      - .offset:         96
        .size:           8
        .value_kind:     by_value
      - .offset:         104
        .size:           8
        .value_kind:     by_value
      - .offset:         112
        .size:           8
        .value_kind:     by_value
      - .offset:         120
        .size:           8
        .value_kind:     by_value
      - .offset:         128
        .size:           8
        .value_kind:     by_value
      - .offset:         136
        .size:           12
        .value_kind:     by_value
      - .offset:         148
        .size:           12
        .value_kind:     by_value
      - .offset:         160
        .size:           12
        .value_kind:     by_value
      - .offset:         172
        .size:           12
        .value_kind:     by_value
      - .offset:         184
        .size:           12
        .value_kind:     by_value
      - .offset:         200
        .size:           4
        .value_kind:     hidden_block_count_x
      - .offset:         204
        .size:           4
        .value_kind:     hidden_block_count_y
      - .offset:         208
        .size:           4
        .value_kind:     hidden_block_count_z
      - .offset:         212
        .size:           2
        .value_kind:     hidden_group_size_x
      - .offset:         214
        .size:           2
        .value_kind:     hidden_group_size_y
      - .offset:         216
        .size:           2
        .value_kind:     hidden_group_size_z
      - .offset:         218
        .size:           2
        .value_kind:     hidden_remainder_x
      - .offset:         220
        .size:           2
        .value_kind:     hidden_remainder_y
      - .offset:         222
        .size:           2
        .value_kind:     hidden_remainder_z
      - .offset:         240
        .size:           8
        .value_kind:     hidden_global_offset_x
      - .offset:         248
        .size:           8
        .value_kind:     hidden_global_offset_y
      - .offset:         256
        .size:           8
        .value_kind:     hidden_global_offset_z
      - .offset:         264
        .size:           2
        .value_kind:     hidden_grid_dims
    .group_segment_fixed_size: 0
    .kernarg_segment_align: 8
    .kernarg_segment_size: 456
    .language:       OpenCL C
    .language_version:
      - 2
      - 0
    .max_flat_workgroup_size: 1024
    .name:           _ZL16k_set_rows_quantIl10block_q5_1Li32ETnPFvPKfPT0_EXadL_ZL23quantize_f32_q5_1_blockS2_PS0_EEEvS2_PKT_S4_llllllllllllll15HIP_vector_typeIjLj3EESC_SC_SC_SC_
    .private_segment_fixed_size: 0
    .sgpr_count:     34
    .sgpr_spill_count: 0
    .symbol:         _ZL16k_set_rows_quantIl10block_q5_1Li32ETnPFvPKfPT0_EXadL_ZL23quantize_f32_q5_1_blockS2_PS0_EEEvS2_PKT_S4_llllllllllllll15HIP_vector_typeIjLj3EESC_SC_SC_SC_.kd
    .uniform_work_group_size: 1
    .uses_dynamic_stack: false
    .vgpr_count:     49
    .vgpr_spill_count: 0
    .wavefront_size: 32
    .workgroup_processor_mode: 1
  - .args:
      - .actual_access:  read_only
        .address_space:  global
        .offset:         0
        .size:           8
        .value_kind:     global_buffer
      - .actual_access:  read_only
        .address_space:  global
        .offset:         8
        .size:           8
        .value_kind:     global_buffer
      - .actual_access:  write_only
        .address_space:  global
        .offset:         16
        .size:           8
        .value_kind:     global_buffer
      - .offset:         24
        .size:           8
        .value_kind:     by_value
      - .offset:         32
        .size:           8
        .value_kind:     by_value
      - .offset:         40
        .size:           8
        .value_kind:     by_value
      - .offset:         48
        .size:           8
        .value_kind:     by_value
      - .offset:         56
        .size:           8
        .value_kind:     by_value
      - .offset:         64
        .size:           8
        .value_kind:     by_value
      - .offset:         72
        .size:           8
        .value_kind:     by_value
      - .offset:         80
        .size:           8
        .value_kind:     by_value
      - .offset:         88
        .size:           8
        .value_kind:     by_value
      - .offset:         96
        .size:           8
        .value_kind:     by_value
      - .offset:         104
        .size:           8
        .value_kind:     by_value
      - .offset:         112
        .size:           8
        .value_kind:     by_value
      - .offset:         120
        .size:           8
        .value_kind:     by_value
      - .offset:         128
        .size:           8
        .value_kind:     by_value
      - .offset:         136
        .size:           12
        .value_kind:     by_value
      - .offset:         148
        .size:           12
        .value_kind:     by_value
      - .offset:         160
        .size:           12
        .value_kind:     by_value
      - .offset:         172
        .size:           12
        .value_kind:     by_value
      - .offset:         184
        .size:           12
        .value_kind:     by_value
      - .offset:         200
        .size:           4
        .value_kind:     hidden_block_count_x
      - .offset:         204
        .size:           4
        .value_kind:     hidden_block_count_y
      - .offset:         208
        .size:           4
        .value_kind:     hidden_block_count_z
      - .offset:         212
        .size:           2
        .value_kind:     hidden_group_size_x
      - .offset:         214
        .size:           2
        .value_kind:     hidden_group_size_y
      - .offset:         216
        .size:           2
        .value_kind:     hidden_group_size_z
      - .offset:         218
        .size:           2
        .value_kind:     hidden_remainder_x
      - .offset:         220
        .size:           2
        .value_kind:     hidden_remainder_y
      - .offset:         222
        .size:           2
        .value_kind:     hidden_remainder_z
      - .offset:         240
        .size:           8
        .value_kind:     hidden_global_offset_x
      - .offset:         248
        .size:           8
        .value_kind:     hidden_global_offset_y
      - .offset:         256
        .size:           8
        .value_kind:     hidden_global_offset_z
      - .offset:         264
        .size:           2
        .value_kind:     hidden_grid_dims
    .group_segment_fixed_size: 0
    .kernarg_segment_align: 8
    .kernarg_segment_size: 456
    .language:       OpenCL C
    .language_version:
      - 2
      - 0
    .max_flat_workgroup_size: 1024
    .name:           _ZL16k_set_rows_quantIl10block_q8_0Li32ETnPFvPKfPT0_EXadL_ZL23quantize_f32_q8_0_blockS2_PS0_EEEvS2_PKT_S4_llllllllllllll15HIP_vector_typeIjLj3EESC_SC_SC_SC_
    .private_segment_fixed_size: 0
    .sgpr_count:     46
    .sgpr_spill_count: 0
    .symbol:         _ZL16k_set_rows_quantIl10block_q8_0Li32ETnPFvPKfPT0_EXadL_ZL23quantize_f32_q8_0_blockS2_PS0_EEEvS2_PKT_S4_llllllllllllll15HIP_vector_typeIjLj3EESC_SC_SC_SC_.kd
    .uniform_work_group_size: 1
    .uses_dynamic_stack: false
    .vgpr_count:     92
    .vgpr_spill_count: 0
    .wavefront_size: 32
    .workgroup_processor_mode: 1
  - .args:
      - .actual_access:  read_only
        .address_space:  global
        .offset:         0
        .size:           8
        .value_kind:     global_buffer
      - .actual_access:  read_only
        .address_space:  global
        .offset:         8
        .size:           8
        .value_kind:     global_buffer
      - .actual_access:  write_only
        .address_space:  global
        .offset:         16
        .size:           8
        .value_kind:     global_buffer
      - .offset:         24
        .size:           8
        .value_kind:     by_value
      - .offset:         32
        .size:           8
        .value_kind:     by_value
      - .offset:         40
        .size:           8
        .value_kind:     by_value
      - .offset:         48
        .size:           8
        .value_kind:     by_value
      - .offset:         56
        .size:           8
        .value_kind:     by_value
      - .offset:         64
        .size:           8
        .value_kind:     by_value
      - .offset:         72
        .size:           8
        .value_kind:     by_value
      - .offset:         80
        .size:           8
        .value_kind:     by_value
      - .offset:         88
        .size:           8
        .value_kind:     by_value
      - .offset:         96
        .size:           8
        .value_kind:     by_value
      - .offset:         104
        .size:           8
        .value_kind:     by_value
      - .offset:         112
        .size:           8
        .value_kind:     by_value
      - .offset:         120
        .size:           8
        .value_kind:     by_value
      - .offset:         128
        .size:           8
        .value_kind:     by_value
      - .offset:         136
        .size:           12
        .value_kind:     by_value
      - .offset:         148
        .size:           12
        .value_kind:     by_value
      - .offset:         160
        .size:           12
        .value_kind:     by_value
      - .offset:         172
        .size:           12
        .value_kind:     by_value
      - .offset:         184
        .size:           12
        .value_kind:     by_value
      - .offset:         200
        .size:           4
        .value_kind:     hidden_block_count_x
      - .offset:         204
        .size:           4
        .value_kind:     hidden_block_count_y
      - .offset:         208
        .size:           4
        .value_kind:     hidden_block_count_z
      - .offset:         212
        .size:           2
        .value_kind:     hidden_group_size_x
      - .offset:         214
        .size:           2
        .value_kind:     hidden_group_size_y
      - .offset:         216
        .size:           2
        .value_kind:     hidden_group_size_z
      - .offset:         218
        .size:           2
        .value_kind:     hidden_remainder_x
      - .offset:         220
        .size:           2
        .value_kind:     hidden_remainder_y
      - .offset:         222
        .size:           2
        .value_kind:     hidden_remainder_z
      - .offset:         240
        .size:           8
        .value_kind:     hidden_global_offset_x
      - .offset:         248
        .size:           8
        .value_kind:     hidden_global_offset_y
      - .offset:         256
        .size:           8
        .value_kind:     hidden_global_offset_z
      - .offset:         264
        .size:           2
        .value_kind:     hidden_grid_dims
    .group_segment_fixed_size: 0
    .kernarg_segment_align: 8
    .kernarg_segment_size: 456
    .language:       OpenCL C
    .language_version:
      - 2
      - 0
    .max_flat_workgroup_size: 1024
    .name:           _ZL16k_set_rows_quantIl12block_iq4_nlLi32ETnPFvPKfPT0_EXadL_ZL25quantize_f32_iq4_nl_blockS2_PS0_EEEvS2_PKT_S4_llllllllllllll15HIP_vector_typeIjLj3EESC_SC_SC_SC_
    .private_segment_fixed_size: 0
    .sgpr_count:     34
    .sgpr_spill_count: 0
    .symbol:         _ZL16k_set_rows_quantIl12block_iq4_nlLi32ETnPFvPKfPT0_EXadL_ZL25quantize_f32_iq4_nl_blockS2_PS0_EEEvS2_PKT_S4_llllllllllllll15HIP_vector_typeIjLj3EESC_SC_SC_SC_.kd
    .uniform_work_group_size: 1
    .uses_dynamic_stack: false
    .vgpr_count:     41
    .vgpr_spill_count: 0
    .wavefront_size: 32
    .workgroup_processor_mode: 1
  - .args:
      - .address_space:  global
        .offset:         0
        .size:           8
        .value_kind:     global_buffer
      - .address_space:  global
        .offset:         8
        .size:           8
        .value_kind:     global_buffer
      - .address_space:  global
        .offset:         16
        .size:           8
        .value_kind:     global_buffer
      - .offset:         24
        .size:           8
        .value_kind:     by_value
      - .offset:         32
        .size:           8
        .value_kind:     by_value
      - .offset:         40
        .size:           8
        .value_kind:     by_value
      - .offset:         48
        .size:           8
        .value_kind:     by_value
      - .offset:         56
        .size:           8
        .value_kind:     by_value
      - .offset:         64
        .size:           8
        .value_kind:     by_value
      - .offset:         72
        .size:           8
        .value_kind:     by_value
      - .offset:         80
        .size:           8
        .value_kind:     by_value
      - .offset:         88
        .size:           8
        .value_kind:     by_value
      - .offset:         96
        .size:           8
        .value_kind:     by_value
      - .offset:         104
        .size:           8
        .value_kind:     by_value
      - .offset:         112
        .size:           8
        .value_kind:     by_value
      - .offset:         120
        .size:           8
        .value_kind:     by_value
      - .offset:         128
        .size:           8
        .value_kind:     by_value
      - .offset:         136
        .size:           12
        .value_kind:     by_value
      - .offset:         148
        .size:           12
        .value_kind:     by_value
      - .offset:         160
        .size:           12
        .value_kind:     by_value
      - .offset:         172
        .size:           12
        .value_kind:     by_value
      - .offset:         184
        .size:           12
        .value_kind:     by_value
      - .offset:         200
        .size:           4
        .value_kind:     hidden_block_count_x
      - .offset:         204
        .size:           4
        .value_kind:     hidden_block_count_y
      - .offset:         208
        .size:           4
        .value_kind:     hidden_block_count_z
      - .offset:         212
        .size:           2
        .value_kind:     hidden_group_size_x
      - .offset:         214
        .size:           2
        .value_kind:     hidden_group_size_y
      - .offset:         216
        .size:           2
        .value_kind:     hidden_group_size_z
      - .offset:         218
        .size:           2
        .value_kind:     hidden_remainder_x
      - .offset:         220
        .size:           2
        .value_kind:     hidden_remainder_y
      - .offset:         222
        .size:           2
        .value_kind:     hidden_remainder_z
      - .offset:         240
        .size:           8
        .value_kind:     hidden_global_offset_x
      - .offset:         248
        .size:           8
        .value_kind:     hidden_global_offset_y
      - .offset:         256
        .size:           8
        .value_kind:     hidden_global_offset_z
      - .offset:         264
        .size:           2
        .value_kind:     hidden_grid_dims
    .group_segment_fixed_size: 0
    .kernarg_segment_align: 8
    .kernarg_segment_size: 456
    .language:       OpenCL C
    .language_version:
      - 2
      - 0
    .max_flat_workgroup_size: 1024
    .name:           _ZL10k_set_rowsIfifEvPKT_PKT0_PT1_llllllllllllll15HIP_vector_typeIjLj3EES9_S9_S9_S9_
    .private_segment_fixed_size: 0
    .sgpr_count:     46
    .sgpr_spill_count: 0
    .symbol:         _ZL10k_set_rowsIfifEvPKT_PKT0_PT1_llllllllllllll15HIP_vector_typeIjLj3EES9_S9_S9_S9_.kd
    .uniform_work_group_size: 1
    .uses_dynamic_stack: false
    .vgpr_count:     18
    .vgpr_spill_count: 0
    .wavefront_size: 32
    .workgroup_processor_mode: 1
  - .args:
      - .address_space:  global
        .offset:         0
        .size:           8
        .value_kind:     global_buffer
      - .address_space:  global
        .offset:         8
        .size:           8
        .value_kind:     global_buffer
      - .address_space:  global
        .offset:         16
        .size:           8
        .value_kind:     global_buffer
      - .offset:         24
        .size:           8
        .value_kind:     by_value
      - .offset:         32
        .size:           8
        .value_kind:     by_value
      - .offset:         40
        .size:           8
        .value_kind:     by_value
      - .offset:         48
        .size:           8
        .value_kind:     by_value
      - .offset:         56
        .size:           8
        .value_kind:     by_value
      - .offset:         64
        .size:           8
        .value_kind:     by_value
      - .offset:         72
        .size:           8
        .value_kind:     by_value
      - .offset:         80
        .size:           8
        .value_kind:     by_value
      - .offset:         88
        .size:           8
        .value_kind:     by_value
      - .offset:         96
        .size:           8
        .value_kind:     by_value
      - .offset:         104
        .size:           8
        .value_kind:     by_value
      - .offset:         112
        .size:           8
        .value_kind:     by_value
      - .offset:         120
        .size:           8
        .value_kind:     by_value
      - .offset:         128
        .size:           8
        .value_kind:     by_value
      - .offset:         136
        .size:           12
        .value_kind:     by_value
      - .offset:         148
        .size:           12
        .value_kind:     by_value
      - .offset:         160
        .size:           12
        .value_kind:     by_value
      - .offset:         172
        .size:           12
        .value_kind:     by_value
      - .offset:         184
        .size:           12
        .value_kind:     by_value
      - .offset:         200
        .size:           4
        .value_kind:     hidden_block_count_x
      - .offset:         204
        .size:           4
        .value_kind:     hidden_block_count_y
      - .offset:         208
        .size:           4
        .value_kind:     hidden_block_count_z
      - .offset:         212
        .size:           2
        .value_kind:     hidden_group_size_x
      - .offset:         214
        .size:           2
        .value_kind:     hidden_group_size_y
      - .offset:         216
        .size:           2
        .value_kind:     hidden_group_size_z
      - .offset:         218
        .size:           2
        .value_kind:     hidden_remainder_x
      - .offset:         220
        .size:           2
        .value_kind:     hidden_remainder_y
      - .offset:         222
        .size:           2
        .value_kind:     hidden_remainder_z
      - .offset:         240
        .size:           8
        .value_kind:     hidden_global_offset_x
      - .offset:         248
        .size:           8
        .value_kind:     hidden_global_offset_y
      - .offset:         256
        .size:           8
        .value_kind:     hidden_global_offset_z
      - .offset:         264
        .size:           2
        .value_kind:     hidden_grid_dims
    .group_segment_fixed_size: 0
    .kernarg_segment_align: 8
    .kernarg_segment_size: 456
    .language:       OpenCL C
    .language_version:
      - 2
      - 0
    .max_flat_workgroup_size: 1024
    .name:           _ZL10k_set_rowsIfi6__halfEvPKT_PKT0_PT1_llllllllllllll15HIP_vector_typeIjLj3EESA_SA_SA_SA_
    .private_segment_fixed_size: 0
    .sgpr_count:     46
    .sgpr_spill_count: 0
    .symbol:         _ZL10k_set_rowsIfi6__halfEvPKT_PKT0_PT1_llllllllllllll15HIP_vector_typeIjLj3EESA_SA_SA_SA_.kd
    .uniform_work_group_size: 1
    .uses_dynamic_stack: false
    .vgpr_count:     20
    .vgpr_spill_count: 0
    .wavefront_size: 32
    .workgroup_processor_mode: 1
  - .args:
      - .address_space:  global
        .offset:         0
        .size:           8
        .value_kind:     global_buffer
      - .address_space:  global
        .offset:         8
        .size:           8
        .value_kind:     global_buffer
      - .address_space:  global
        .offset:         16
        .size:           8
        .value_kind:     global_buffer
      - .offset:         24
        .size:           8
        .value_kind:     by_value
      - .offset:         32
        .size:           8
        .value_kind:     by_value
      - .offset:         40
        .size:           8
        .value_kind:     by_value
      - .offset:         48
        .size:           8
        .value_kind:     by_value
      - .offset:         56
        .size:           8
        .value_kind:     by_value
      - .offset:         64
        .size:           8
        .value_kind:     by_value
      - .offset:         72
        .size:           8
        .value_kind:     by_value
      - .offset:         80
        .size:           8
        .value_kind:     by_value
      - .offset:         88
        .size:           8
        .value_kind:     by_value
      - .offset:         96
        .size:           8
        .value_kind:     by_value
      - .offset:         104
        .size:           8
        .value_kind:     by_value
      - .offset:         112
        .size:           8
        .value_kind:     by_value
      - .offset:         120
        .size:           8
        .value_kind:     by_value
      - .offset:         128
        .size:           8
        .value_kind:     by_value
      - .offset:         136
        .size:           12
        .value_kind:     by_value
      - .offset:         148
        .size:           12
        .value_kind:     by_value
      - .offset:         160
        .size:           12
        .value_kind:     by_value
      - .offset:         172
        .size:           12
        .value_kind:     by_value
      - .offset:         184
        .size:           12
        .value_kind:     by_value
      - .offset:         200
        .size:           4
        .value_kind:     hidden_block_count_x
      - .offset:         204
        .size:           4
        .value_kind:     hidden_block_count_y
      - .offset:         208
        .size:           4
        .value_kind:     hidden_block_count_z
      - .offset:         212
        .size:           2
        .value_kind:     hidden_group_size_x
      - .offset:         214
        .size:           2
        .value_kind:     hidden_group_size_y
      - .offset:         216
        .size:           2
        .value_kind:     hidden_group_size_z
      - .offset:         218
        .size:           2
        .value_kind:     hidden_remainder_x
      - .offset:         220
        .size:           2
        .value_kind:     hidden_remainder_y
      - .offset:         222
        .size:           2
        .value_kind:     hidden_remainder_z
      - .offset:         240
        .size:           8
        .value_kind:     hidden_global_offset_x
      - .offset:         248
        .size:           8
        .value_kind:     hidden_global_offset_y
      - .offset:         256
        .size:           8
        .value_kind:     hidden_global_offset_z
      - .offset:         264
        .size:           2
        .value_kind:     hidden_grid_dims
    .group_segment_fixed_size: 0
    .kernarg_segment_align: 8
    .kernarg_segment_size: 456
    .language:       OpenCL C
    .language_version:
      - 2
      - 0
    .max_flat_workgroup_size: 1024
    .name:           _ZL10k_set_rowsIfi14__hip_bfloat16EvPKT_PKT0_PT1_llllllllllllll15HIP_vector_typeIjLj3EESA_SA_SA_SA_
    .private_segment_fixed_size: 0
    .sgpr_count:     46
    .sgpr_spill_count: 0
    .symbol:         _ZL10k_set_rowsIfi14__hip_bfloat16EvPKT_PKT0_PT1_llllllllllllll15HIP_vector_typeIjLj3EESA_SA_SA_SA_.kd
    .uniform_work_group_size: 1
    .uses_dynamic_stack: false
    .vgpr_count:     23
    .vgpr_spill_count: 0
    .wavefront_size: 32
    .workgroup_processor_mode: 1
  - .args:
      - .actual_access:  read_only
        .address_space:  global
        .offset:         0
        .size:           8
        .value_kind:     global_buffer
      - .actual_access:  read_only
        .address_space:  global
        .offset:         8
        .size:           8
        .value_kind:     global_buffer
      - .actual_access:  write_only
        .address_space:  global
        .offset:         16
        .size:           8
        .value_kind:     global_buffer
      - .offset:         24
        .size:           8
        .value_kind:     by_value
      - .offset:         32
        .size:           8
        .value_kind:     by_value
      - .offset:         40
        .size:           8
        .value_kind:     by_value
      - .offset:         48
        .size:           8
        .value_kind:     by_value
      - .offset:         56
        .size:           8
        .value_kind:     by_value
      - .offset:         64
        .size:           8
        .value_kind:     by_value
      - .offset:         72
        .size:           8
        .value_kind:     by_value
      - .offset:         80
        .size:           8
        .value_kind:     by_value
      - .offset:         88
        .size:           8
        .value_kind:     by_value
      - .offset:         96
        .size:           8
        .value_kind:     by_value
      - .offset:         104
        .size:           8
        .value_kind:     by_value
      - .offset:         112
        .size:           8
        .value_kind:     by_value
      - .offset:         120
        .size:           8
        .value_kind:     by_value
      - .offset:         128
        .size:           8
        .value_kind:     by_value
      - .offset:         136
        .size:           12
        .value_kind:     by_value
      - .offset:         148
        .size:           12
        .value_kind:     by_value
      - .offset:         160
        .size:           12
        .value_kind:     by_value
      - .offset:         172
        .size:           12
        .value_kind:     by_value
      - .offset:         184
        .size:           12
        .value_kind:     by_value
      - .offset:         200
        .size:           4
        .value_kind:     hidden_block_count_x
      - .offset:         204
        .size:           4
        .value_kind:     hidden_block_count_y
      - .offset:         208
        .size:           4
        .value_kind:     hidden_block_count_z
      - .offset:         212
        .size:           2
        .value_kind:     hidden_group_size_x
      - .offset:         214
        .size:           2
        .value_kind:     hidden_group_size_y
      - .offset:         216
        .size:           2
        .value_kind:     hidden_group_size_z
      - .offset:         218
        .size:           2
        .value_kind:     hidden_remainder_x
      - .offset:         220
        .size:           2
        .value_kind:     hidden_remainder_y
      - .offset:         222
        .size:           2
        .value_kind:     hidden_remainder_z
      - .offset:         240
        .size:           8
        .value_kind:     hidden_global_offset_x
      - .offset:         248
        .size:           8
        .value_kind:     hidden_global_offset_y
      - .offset:         256
        .size:           8
        .value_kind:     hidden_global_offset_z
      - .offset:         264
        .size:           2
        .value_kind:     hidden_grid_dims
    .group_segment_fixed_size: 0
    .kernarg_segment_align: 8
    .kernarg_segment_size: 456
    .language:       OpenCL C
    .language_version:
      - 2
      - 0
    .max_flat_workgroup_size: 1024
    .name:           _ZL16k_set_rows_quantIi10block_q4_0Li32ETnPFvPKfPT0_EXadL_ZL23quantize_f32_q4_0_blockS2_PS0_EEEvS2_PKT_S4_llllllllllllll15HIP_vector_typeIjLj3EESC_SC_SC_SC_
    .private_segment_fixed_size: 0
    .sgpr_count:     34
    .sgpr_spill_count: 0
    .symbol:         _ZL16k_set_rows_quantIi10block_q4_0Li32ETnPFvPKfPT0_EXadL_ZL23quantize_f32_q4_0_blockS2_PS0_EEEvS2_PKT_S4_llllllllllllll15HIP_vector_typeIjLj3EESC_SC_SC_SC_.kd
    .uniform_work_group_size: 1
    .uses_dynamic_stack: false
    .vgpr_count:     71
    .vgpr_spill_count: 0
    .wavefront_size: 32
    .workgroup_processor_mode: 1
  - .args:
      - .actual_access:  read_only
        .address_space:  global
        .offset:         0
        .size:           8
        .value_kind:     global_buffer
      - .actual_access:  read_only
        .address_space:  global
        .offset:         8
        .size:           8
        .value_kind:     global_buffer
      - .actual_access:  write_only
        .address_space:  global
        .offset:         16
        .size:           8
        .value_kind:     global_buffer
      - .offset:         24
        .size:           8
        .value_kind:     by_value
      - .offset:         32
        .size:           8
        .value_kind:     by_value
      - .offset:         40
        .size:           8
        .value_kind:     by_value
      - .offset:         48
        .size:           8
        .value_kind:     by_value
      - .offset:         56
        .size:           8
        .value_kind:     by_value
      - .offset:         64
        .size:           8
        .value_kind:     by_value
      - .offset:         72
        .size:           8
        .value_kind:     by_value
      - .offset:         80
        .size:           8
        .value_kind:     by_value
      - .offset:         88
        .size:           8
        .value_kind:     by_value
      - .offset:         96
        .size:           8
        .value_kind:     by_value
      - .offset:         104
        .size:           8
        .value_kind:     by_value
      - .offset:         112
        .size:           8
        .value_kind:     by_value
      - .offset:         120
        .size:           8
        .value_kind:     by_value
      - .offset:         128
        .size:           8
        .value_kind:     by_value
      - .offset:         136
        .size:           12
        .value_kind:     by_value
      - .offset:         148
        .size:           12
        .value_kind:     by_value
      - .offset:         160
        .size:           12
        .value_kind:     by_value
      - .offset:         172
        .size:           12
        .value_kind:     by_value
      - .offset:         184
        .size:           12
        .value_kind:     by_value
      - .offset:         200
        .size:           4
        .value_kind:     hidden_block_count_x
      - .offset:         204
        .size:           4
        .value_kind:     hidden_block_count_y
      - .offset:         208
        .size:           4
        .value_kind:     hidden_block_count_z
      - .offset:         212
        .size:           2
        .value_kind:     hidden_group_size_x
      - .offset:         214
        .size:           2
        .value_kind:     hidden_group_size_y
      - .offset:         216
        .size:           2
        .value_kind:     hidden_group_size_z
      - .offset:         218
        .size:           2
        .value_kind:     hidden_remainder_x
      - .offset:         220
        .size:           2
        .value_kind:     hidden_remainder_y
      - .offset:         222
        .size:           2
        .value_kind:     hidden_remainder_z
      - .offset:         240
        .size:           8
        .value_kind:     hidden_global_offset_x
      - .offset:         248
        .size:           8
        .value_kind:     hidden_global_offset_y
      - .offset:         256
        .size:           8
        .value_kind:     hidden_global_offset_z
      - .offset:         264
        .size:           2
        .value_kind:     hidden_grid_dims
    .group_segment_fixed_size: 0
    .kernarg_segment_align: 8
    .kernarg_segment_size: 456
    .language:       OpenCL C
    .language_version:
      - 2
      - 0
    .max_flat_workgroup_size: 1024
    .name:           _ZL16k_set_rows_quantIi10block_q4_1Li32ETnPFvPKfPT0_EXadL_ZL23quantize_f32_q4_1_blockS2_PS0_EEEvS2_PKT_S4_llllllllllllll15HIP_vector_typeIjLj3EESC_SC_SC_SC_
    .private_segment_fixed_size: 0
    .sgpr_count:     34
    .sgpr_spill_count: 0
    .symbol:         _ZL16k_set_rows_quantIi10block_q4_1Li32ETnPFvPKfPT0_EXadL_ZL23quantize_f32_q4_1_blockS2_PS0_EEEvS2_PKT_S4_llllllllllllll15HIP_vector_typeIjLj3EESC_SC_SC_SC_.kd
    .uniform_work_group_size: 1
    .uses_dynamic_stack: false
    .vgpr_count:     72
    .vgpr_spill_count: 0
    .wavefront_size: 32
    .workgroup_processor_mode: 1
  - .args:
      - .actual_access:  read_only
        .address_space:  global
        .offset:         0
        .size:           8
        .value_kind:     global_buffer
      - .actual_access:  read_only
        .address_space:  global
        .offset:         8
        .size:           8
        .value_kind:     global_buffer
      - .actual_access:  write_only
        .address_space:  global
        .offset:         16
        .size:           8
        .value_kind:     global_buffer
      - .offset:         24
        .size:           8
        .value_kind:     by_value
      - .offset:         32
        .size:           8
        .value_kind:     by_value
      - .offset:         40
        .size:           8
        .value_kind:     by_value
      - .offset:         48
        .size:           8
        .value_kind:     by_value
      - .offset:         56
        .size:           8
        .value_kind:     by_value
      - .offset:         64
        .size:           8
        .value_kind:     by_value
      - .offset:         72
        .size:           8
        .value_kind:     by_value
      - .offset:         80
        .size:           8
        .value_kind:     by_value
      - .offset:         88
        .size:           8
        .value_kind:     by_value
      - .offset:         96
        .size:           8
        .value_kind:     by_value
      - .offset:         104
        .size:           8
        .value_kind:     by_value
      - .offset:         112
        .size:           8
        .value_kind:     by_value
      - .offset:         120
        .size:           8
        .value_kind:     by_value
      - .offset:         128
        .size:           8
        .value_kind:     by_value
      - .offset:         136
        .size:           12
        .value_kind:     by_value
      - .offset:         148
        .size:           12
        .value_kind:     by_value
      - .offset:         160
        .size:           12
        .value_kind:     by_value
      - .offset:         172
        .size:           12
        .value_kind:     by_value
      - .offset:         184
        .size:           12
        .value_kind:     by_value
      - .offset:         200
        .size:           4
        .value_kind:     hidden_block_count_x
      - .offset:         204
        .size:           4
        .value_kind:     hidden_block_count_y
      - .offset:         208
        .size:           4
        .value_kind:     hidden_block_count_z
      - .offset:         212
        .size:           2
        .value_kind:     hidden_group_size_x
      - .offset:         214
        .size:           2
        .value_kind:     hidden_group_size_y
      - .offset:         216
        .size:           2
        .value_kind:     hidden_group_size_z
      - .offset:         218
        .size:           2
        .value_kind:     hidden_remainder_x
      - .offset:         220
        .size:           2
        .value_kind:     hidden_remainder_y
      - .offset:         222
        .size:           2
        .value_kind:     hidden_remainder_z
      - .offset:         240
        .size:           8
        .value_kind:     hidden_global_offset_x
      - .offset:         248
        .size:           8
        .value_kind:     hidden_global_offset_y
      - .offset:         256
        .size:           8
        .value_kind:     hidden_global_offset_z
      - .offset:         264
        .size:           2
        .value_kind:     hidden_grid_dims
    .group_segment_fixed_size: 0
    .kernarg_segment_align: 8
    .kernarg_segment_size: 456
    .language:       OpenCL C
    .language_version:
      - 2
      - 0
    .max_flat_workgroup_size: 1024
    .name:           _ZL16k_set_rows_quantIi10block_q5_0Li32ETnPFvPKfPT0_EXadL_ZL23quantize_f32_q5_0_blockS2_PS0_EEEvS2_PKT_S4_llllllllllllll15HIP_vector_typeIjLj3EESC_SC_SC_SC_
    .private_segment_fixed_size: 0
    .sgpr_count:     34
    .sgpr_spill_count: 0
    .symbol:         _ZL16k_set_rows_quantIi10block_q5_0Li32ETnPFvPKfPT0_EXadL_ZL23quantize_f32_q5_0_blockS2_PS0_EEEvS2_PKT_S4_llllllllllllll15HIP_vector_typeIjLj3EESC_SC_SC_SC_.kd
    .uniform_work_group_size: 1
    .uses_dynamic_stack: false
    .vgpr_count:     48
    .vgpr_spill_count: 0
    .wavefront_size: 32
    .workgroup_processor_mode: 1
  - .args:
      - .actual_access:  read_only
        .address_space:  global
        .offset:         0
        .size:           8
        .value_kind:     global_buffer
      - .actual_access:  read_only
        .address_space:  global
        .offset:         8
        .size:           8
        .value_kind:     global_buffer
      - .actual_access:  write_only
        .address_space:  global
        .offset:         16
        .size:           8
        .value_kind:     global_buffer
      - .offset:         24
        .size:           8
        .value_kind:     by_value
      - .offset:         32
        .size:           8
        .value_kind:     by_value
      - .offset:         40
        .size:           8
        .value_kind:     by_value
      - .offset:         48
        .size:           8
        .value_kind:     by_value
      - .offset:         56
        .size:           8
        .value_kind:     by_value
      - .offset:         64
        .size:           8
        .value_kind:     by_value
      - .offset:         72
        .size:           8
        .value_kind:     by_value
      - .offset:         80
        .size:           8
        .value_kind:     by_value
      - .offset:         88
        .size:           8
        .value_kind:     by_value
      - .offset:         96
        .size:           8
        .value_kind:     by_value
      - .offset:         104
        .size:           8
        .value_kind:     by_value
      - .offset:         112
        .size:           8
        .value_kind:     by_value
      - .offset:         120
        .size:           8
        .value_kind:     by_value
      - .offset:         128
        .size:           8
        .value_kind:     by_value
      - .offset:         136
        .size:           12
        .value_kind:     by_value
      - .offset:         148
        .size:           12
        .value_kind:     by_value
      - .offset:         160
        .size:           12
        .value_kind:     by_value
      - .offset:         172
        .size:           12
        .value_kind:     by_value
      - .offset:         184
        .size:           12
        .value_kind:     by_value
      - .offset:         200
        .size:           4
        .value_kind:     hidden_block_count_x
      - .offset:         204
        .size:           4
        .value_kind:     hidden_block_count_y
      - .offset:         208
        .size:           4
        .value_kind:     hidden_block_count_z
      - .offset:         212
        .size:           2
        .value_kind:     hidden_group_size_x
      - .offset:         214
        .size:           2
        .value_kind:     hidden_group_size_y
      - .offset:         216
        .size:           2
        .value_kind:     hidden_group_size_z
      - .offset:         218
        .size:           2
        .value_kind:     hidden_remainder_x
      - .offset:         220
        .size:           2
        .value_kind:     hidden_remainder_y
      - .offset:         222
        .size:           2
        .value_kind:     hidden_remainder_z
      - .offset:         240
        .size:           8
        .value_kind:     hidden_global_offset_x
      - .offset:         248
        .size:           8
        .value_kind:     hidden_global_offset_y
      - .offset:         256
        .size:           8
        .value_kind:     hidden_global_offset_z
      - .offset:         264
        .size:           2
        .value_kind:     hidden_grid_dims
    .group_segment_fixed_size: 0
    .kernarg_segment_align: 8
    .kernarg_segment_size: 456
    .language:       OpenCL C
    .language_version:
      - 2
      - 0
    .max_flat_workgroup_size: 1024
    .name:           _ZL16k_set_rows_quantIi10block_q5_1Li32ETnPFvPKfPT0_EXadL_ZL23quantize_f32_q5_1_blockS2_PS0_EEEvS2_PKT_S4_llllllllllllll15HIP_vector_typeIjLj3EESC_SC_SC_SC_
    .private_segment_fixed_size: 0
    .sgpr_count:     34
    .sgpr_spill_count: 0
    .symbol:         _ZL16k_set_rows_quantIi10block_q5_1Li32ETnPFvPKfPT0_EXadL_ZL23quantize_f32_q5_1_blockS2_PS0_EEEvS2_PKT_S4_llllllllllllll15HIP_vector_typeIjLj3EESC_SC_SC_SC_.kd
    .uniform_work_group_size: 1
    .uses_dynamic_stack: false
    .vgpr_count:     48
    .vgpr_spill_count: 0
    .wavefront_size: 32
    .workgroup_processor_mode: 1
  - .args:
      - .actual_access:  read_only
        .address_space:  global
        .offset:         0
        .size:           8
        .value_kind:     global_buffer
      - .actual_access:  read_only
        .address_space:  global
        .offset:         8
        .size:           8
        .value_kind:     global_buffer
      - .actual_access:  write_only
        .address_space:  global
        .offset:         16
        .size:           8
        .value_kind:     global_buffer
      - .offset:         24
        .size:           8
        .value_kind:     by_value
      - .offset:         32
        .size:           8
        .value_kind:     by_value
      - .offset:         40
        .size:           8
        .value_kind:     by_value
      - .offset:         48
        .size:           8
        .value_kind:     by_value
      - .offset:         56
        .size:           8
        .value_kind:     by_value
      - .offset:         64
        .size:           8
        .value_kind:     by_value
      - .offset:         72
        .size:           8
        .value_kind:     by_value
      - .offset:         80
        .size:           8
        .value_kind:     by_value
      - .offset:         88
        .size:           8
        .value_kind:     by_value
      - .offset:         96
        .size:           8
        .value_kind:     by_value
      - .offset:         104
        .size:           8
        .value_kind:     by_value
      - .offset:         112
        .size:           8
        .value_kind:     by_value
      - .offset:         120
        .size:           8
        .value_kind:     by_value
      - .offset:         128
        .size:           8
        .value_kind:     by_value
      - .offset:         136
        .size:           12
        .value_kind:     by_value
      - .offset:         148
        .size:           12
        .value_kind:     by_value
      - .offset:         160
        .size:           12
        .value_kind:     by_value
      - .offset:         172
        .size:           12
        .value_kind:     by_value
      - .offset:         184
        .size:           12
        .value_kind:     by_value
      - .offset:         200
        .size:           4
        .value_kind:     hidden_block_count_x
      - .offset:         204
        .size:           4
        .value_kind:     hidden_block_count_y
      - .offset:         208
        .size:           4
        .value_kind:     hidden_block_count_z
      - .offset:         212
        .size:           2
        .value_kind:     hidden_group_size_x
      - .offset:         214
        .size:           2
        .value_kind:     hidden_group_size_y
      - .offset:         216
        .size:           2
        .value_kind:     hidden_group_size_z
      - .offset:         218
        .size:           2
        .value_kind:     hidden_remainder_x
      - .offset:         220
        .size:           2
        .value_kind:     hidden_remainder_y
      - .offset:         222
        .size:           2
        .value_kind:     hidden_remainder_z
      - .offset:         240
        .size:           8
        .value_kind:     hidden_global_offset_x
      - .offset:         248
        .size:           8
        .value_kind:     hidden_global_offset_y
      - .offset:         256
        .size:           8
        .value_kind:     hidden_global_offset_z
      - .offset:         264
        .size:           2
        .value_kind:     hidden_grid_dims
    .group_segment_fixed_size: 0
    .kernarg_segment_align: 8
    .kernarg_segment_size: 456
    .language:       OpenCL C
    .language_version:
      - 2
      - 0
    .max_flat_workgroup_size: 1024
    .name:           _ZL16k_set_rows_quantIi10block_q8_0Li32ETnPFvPKfPT0_EXadL_ZL23quantize_f32_q8_0_blockS2_PS0_EEEvS2_PKT_S4_llllllllllllll15HIP_vector_typeIjLj3EESC_SC_SC_SC_
    .private_segment_fixed_size: 0
    .sgpr_count:     46
    .sgpr_spill_count: 0
    .symbol:         _ZL16k_set_rows_quantIi10block_q8_0Li32ETnPFvPKfPT0_EXadL_ZL23quantize_f32_q8_0_blockS2_PS0_EEEvS2_PKT_S4_llllllllllllll15HIP_vector_typeIjLj3EESC_SC_SC_SC_.kd
    .uniform_work_group_size: 1
    .uses_dynamic_stack: false
    .vgpr_count:     92
    .vgpr_spill_count: 0
    .wavefront_size: 32
    .workgroup_processor_mode: 1
  - .args:
      - .actual_access:  read_only
        .address_space:  global
        .offset:         0
        .size:           8
        .value_kind:     global_buffer
      - .actual_access:  read_only
        .address_space:  global
        .offset:         8
        .size:           8
        .value_kind:     global_buffer
      - .actual_access:  write_only
        .address_space:  global
        .offset:         16
        .size:           8
        .value_kind:     global_buffer
      - .offset:         24
        .size:           8
        .value_kind:     by_value
      - .offset:         32
        .size:           8
        .value_kind:     by_value
      - .offset:         40
        .size:           8
        .value_kind:     by_value
      - .offset:         48
        .size:           8
        .value_kind:     by_value
      - .offset:         56
        .size:           8
        .value_kind:     by_value
      - .offset:         64
        .size:           8
        .value_kind:     by_value
      - .offset:         72
        .size:           8
        .value_kind:     by_value
      - .offset:         80
        .size:           8
        .value_kind:     by_value
      - .offset:         88
        .size:           8
        .value_kind:     by_value
      - .offset:         96
        .size:           8
        .value_kind:     by_value
      - .offset:         104
        .size:           8
        .value_kind:     by_value
      - .offset:         112
        .size:           8
        .value_kind:     by_value
      - .offset:         120
        .size:           8
        .value_kind:     by_value
      - .offset:         128
        .size:           8
        .value_kind:     by_value
      - .offset:         136
        .size:           12
        .value_kind:     by_value
      - .offset:         148
        .size:           12
        .value_kind:     by_value
      - .offset:         160
        .size:           12
        .value_kind:     by_value
      - .offset:         172
        .size:           12
        .value_kind:     by_value
      - .offset:         184
        .size:           12
        .value_kind:     by_value
      - .offset:         200
        .size:           4
        .value_kind:     hidden_block_count_x
      - .offset:         204
        .size:           4
        .value_kind:     hidden_block_count_y
      - .offset:         208
        .size:           4
        .value_kind:     hidden_block_count_z
      - .offset:         212
        .size:           2
        .value_kind:     hidden_group_size_x
      - .offset:         214
        .size:           2
        .value_kind:     hidden_group_size_y
      - .offset:         216
        .size:           2
        .value_kind:     hidden_group_size_z
      - .offset:         218
        .size:           2
        .value_kind:     hidden_remainder_x
      - .offset:         220
        .size:           2
        .value_kind:     hidden_remainder_y
      - .offset:         222
        .size:           2
        .value_kind:     hidden_remainder_z
      - .offset:         240
        .size:           8
        .value_kind:     hidden_global_offset_x
      - .offset:         248
        .size:           8
        .value_kind:     hidden_global_offset_y
      - .offset:         256
        .size:           8
        .value_kind:     hidden_global_offset_z
      - .offset:         264
        .size:           2
        .value_kind:     hidden_grid_dims
    .group_segment_fixed_size: 0
    .kernarg_segment_align: 8
    .kernarg_segment_size: 456
    .language:       OpenCL C
    .language_version:
      - 2
      - 0
    .max_flat_workgroup_size: 1024
    .name:           _ZL16k_set_rows_quantIi12block_iq4_nlLi32ETnPFvPKfPT0_EXadL_ZL25quantize_f32_iq4_nl_blockS2_PS0_EEEvS2_PKT_S4_llllllllllllll15HIP_vector_typeIjLj3EESC_SC_SC_SC_
    .private_segment_fixed_size: 0
    .sgpr_count:     34
    .sgpr_spill_count: 0
    .symbol:         _ZL16k_set_rows_quantIi12block_iq4_nlLi32ETnPFvPKfPT0_EXadL_ZL25quantize_f32_iq4_nl_blockS2_PS0_EEEvS2_PKT_S4_llllllllllllll15HIP_vector_typeIjLj3EESC_SC_SC_SC_.kd
    .uniform_work_group_size: 1
    .uses_dynamic_stack: false
    .vgpr_count:     40
    .vgpr_spill_count: 0
    .wavefront_size: 32
    .workgroup_processor_mode: 1
amdhsa.target:   amdgcn-amd-amdhsa--gfx1100
amdhsa.version:
  - 1
  - 2
...

	.end_amdgpu_metadata
